;; amdgpu-corpus repo=ROCm/rocFFT kind=compiled arch=gfx906 opt=O3
	.text
	.amdgcn_target "amdgcn-amd-amdhsa--gfx906"
	.amdhsa_code_object_version 6
	.protected	fft_rtc_back_len1122_factors_17_11_6_wgs_204_tpt_102_halfLds_half_op_CI_CI_sbrr_dirReg ; -- Begin function fft_rtc_back_len1122_factors_17_11_6_wgs_204_tpt_102_halfLds_half_op_CI_CI_sbrr_dirReg
	.globl	fft_rtc_back_len1122_factors_17_11_6_wgs_204_tpt_102_halfLds_half_op_CI_CI_sbrr_dirReg
	.p2align	8
	.type	fft_rtc_back_len1122_factors_17_11_6_wgs_204_tpt_102_halfLds_half_op_CI_CI_sbrr_dirReg,@function
fft_rtc_back_len1122_factors_17_11_6_wgs_204_tpt_102_halfLds_half_op_CI_CI_sbrr_dirReg: ; @fft_rtc_back_len1122_factors_17_11_6_wgs_204_tpt_102_halfLds_half_op_CI_CI_sbrr_dirReg
; %bb.0:
	s_load_dwordx4 s[16:19], s[4:5], 0x18
	s_load_dwordx4 s[8:11], s[4:5], 0x0
	;; [unrolled: 1-line block ×3, first 2 shown]
	v_mul_u32_u24_e32 v1, 0x283, v0
	v_lshrrev_b32_e32 v11, 16, v1
	s_waitcnt lgkmcnt(0)
	s_load_dwordx2 s[22:23], s[16:17], 0x0
	s_load_dwordx2 s[20:21], s[18:19], 0x0
	v_cmp_lt_u64_e64 s[0:1], s[10:11], 2
	v_mov_b32_e32 v7, 0
	v_mov_b32_e32 v5, 0
	v_lshl_add_u32 v9, s6, 1, v11
	v_mov_b32_e32 v10, v7
	s_and_b64 vcc, exec, s[0:1]
	v_mov_b32_e32 v6, 0
	s_cbranch_vccnz .LBB0_8
; %bb.1:
	s_load_dwordx2 s[0:1], s[4:5], 0x10
	s_add_u32 s2, s18, 8
	s_addc_u32 s3, s19, 0
	s_add_u32 s6, s16, 8
	s_addc_u32 s7, s17, 0
	v_mov_b32_e32 v5, 0
	s_waitcnt lgkmcnt(0)
	s_add_u32 s24, s0, 8
	v_mov_b32_e32 v6, 0
	v_mov_b32_e32 v1, v5
	s_addc_u32 s25, s1, 0
	s_mov_b64 s[26:27], 1
	v_mov_b32_e32 v2, v6
.LBB0_2:                                ; =>This Inner Loop Header: Depth=1
	s_load_dwordx2 s[28:29], s[24:25], 0x0
                                        ; implicit-def: $vgpr3_vgpr4
	s_waitcnt lgkmcnt(0)
	v_or_b32_e32 v8, s29, v10
	v_cmp_ne_u64_e32 vcc, 0, v[7:8]
	s_and_saveexec_b64 s[0:1], vcc
	s_xor_b64 s[30:31], exec, s[0:1]
	s_cbranch_execz .LBB0_4
; %bb.3:                                ;   in Loop: Header=BB0_2 Depth=1
	v_cvt_f32_u32_e32 v3, s28
	v_cvt_f32_u32_e32 v4, s29
	s_sub_u32 s0, 0, s28
	s_subb_u32 s1, 0, s29
	v_mac_f32_e32 v3, 0x4f800000, v4
	v_rcp_f32_e32 v3, v3
	v_mul_f32_e32 v3, 0x5f7ffffc, v3
	v_mul_f32_e32 v4, 0x2f800000, v3
	v_trunc_f32_e32 v4, v4
	v_mac_f32_e32 v3, 0xcf800000, v4
	v_cvt_u32_f32_e32 v4, v4
	v_cvt_u32_f32_e32 v3, v3
	v_mul_lo_u32 v8, s0, v4
	v_mul_hi_u32 v12, s0, v3
	v_mul_lo_u32 v14, s1, v3
	v_mul_lo_u32 v13, s0, v3
	v_add_u32_e32 v8, v12, v8
	v_add_u32_e32 v8, v8, v14
	v_mul_hi_u32 v12, v3, v13
	v_mul_lo_u32 v14, v3, v8
	v_mul_hi_u32 v16, v3, v8
	v_mul_hi_u32 v15, v4, v13
	v_mul_lo_u32 v13, v4, v13
	v_mul_hi_u32 v17, v4, v8
	v_add_co_u32_e32 v12, vcc, v12, v14
	v_addc_co_u32_e32 v14, vcc, 0, v16, vcc
	v_mul_lo_u32 v8, v4, v8
	v_add_co_u32_e32 v12, vcc, v12, v13
	v_addc_co_u32_e32 v12, vcc, v14, v15, vcc
	v_addc_co_u32_e32 v13, vcc, 0, v17, vcc
	v_add_co_u32_e32 v8, vcc, v12, v8
	v_addc_co_u32_e32 v12, vcc, 0, v13, vcc
	v_add_co_u32_e32 v3, vcc, v3, v8
	v_addc_co_u32_e32 v4, vcc, v4, v12, vcc
	v_mul_lo_u32 v8, s0, v4
	v_mul_hi_u32 v12, s0, v3
	v_mul_lo_u32 v13, s1, v3
	v_mul_lo_u32 v14, s0, v3
	v_add_u32_e32 v8, v12, v8
	v_add_u32_e32 v8, v8, v13
	v_mul_lo_u32 v15, v3, v8
	v_mul_hi_u32 v16, v3, v14
	v_mul_hi_u32 v17, v3, v8
	;; [unrolled: 1-line block ×3, first 2 shown]
	v_mul_lo_u32 v14, v4, v14
	v_mul_hi_u32 v12, v4, v8
	v_add_co_u32_e32 v15, vcc, v16, v15
	v_addc_co_u32_e32 v16, vcc, 0, v17, vcc
	v_mul_lo_u32 v8, v4, v8
	v_add_co_u32_e32 v14, vcc, v15, v14
	v_addc_co_u32_e32 v13, vcc, v16, v13, vcc
	v_addc_co_u32_e32 v12, vcc, 0, v12, vcc
	v_add_co_u32_e32 v8, vcc, v13, v8
	v_addc_co_u32_e32 v12, vcc, 0, v12, vcc
	v_add_co_u32_e32 v8, vcc, v3, v8
	v_addc_co_u32_e32 v12, vcc, v4, v12, vcc
	v_mad_u64_u32 v[3:4], s[0:1], v9, v12, 0
	v_mul_hi_u32 v13, v9, v8
	v_add_co_u32_e32 v14, vcc, v13, v3
	v_addc_co_u32_e32 v15, vcc, 0, v4, vcc
	v_mad_u64_u32 v[3:4], s[0:1], v10, v8, 0
	v_mad_u64_u32 v[12:13], s[0:1], v10, v12, 0
	v_add_co_u32_e32 v3, vcc, v14, v3
	v_addc_co_u32_e32 v3, vcc, v15, v4, vcc
	v_addc_co_u32_e32 v4, vcc, 0, v13, vcc
	v_add_co_u32_e32 v8, vcc, v3, v12
	v_addc_co_u32_e32 v12, vcc, 0, v4, vcc
	v_mul_lo_u32 v13, s29, v8
	v_mul_lo_u32 v14, s28, v12
	v_mad_u64_u32 v[3:4], s[0:1], s28, v8, 0
	v_add3_u32 v4, v4, v14, v13
	v_sub_u32_e32 v13, v10, v4
	v_mov_b32_e32 v14, s29
	v_sub_co_u32_e32 v3, vcc, v9, v3
	v_subb_co_u32_e64 v13, s[0:1], v13, v14, vcc
	v_subrev_co_u32_e64 v14, s[0:1], s28, v3
	v_subbrev_co_u32_e64 v13, s[0:1], 0, v13, s[0:1]
	v_cmp_le_u32_e64 s[0:1], s29, v13
	v_cndmask_b32_e64 v15, 0, -1, s[0:1]
	v_cmp_le_u32_e64 s[0:1], s28, v14
	v_cndmask_b32_e64 v14, 0, -1, s[0:1]
	v_cmp_eq_u32_e64 s[0:1], s29, v13
	v_cndmask_b32_e64 v13, v15, v14, s[0:1]
	v_add_co_u32_e64 v14, s[0:1], 2, v8
	v_addc_co_u32_e64 v15, s[0:1], 0, v12, s[0:1]
	v_add_co_u32_e64 v16, s[0:1], 1, v8
	v_addc_co_u32_e64 v17, s[0:1], 0, v12, s[0:1]
	v_subb_co_u32_e32 v4, vcc, v10, v4, vcc
	v_cmp_ne_u32_e64 s[0:1], 0, v13
	v_cmp_le_u32_e32 vcc, s29, v4
	v_cndmask_b32_e64 v13, v17, v15, s[0:1]
	v_cndmask_b32_e64 v15, 0, -1, vcc
	v_cmp_le_u32_e32 vcc, s28, v3
	v_cndmask_b32_e64 v3, 0, -1, vcc
	v_cmp_eq_u32_e32 vcc, s29, v4
	v_cndmask_b32_e32 v3, v15, v3, vcc
	v_cmp_ne_u32_e32 vcc, 0, v3
	v_cndmask_b32_e64 v3, v16, v14, s[0:1]
	v_cndmask_b32_e32 v4, v12, v13, vcc
	v_cndmask_b32_e32 v3, v8, v3, vcc
.LBB0_4:                                ;   in Loop: Header=BB0_2 Depth=1
	s_andn2_saveexec_b64 s[0:1], s[30:31]
	s_cbranch_execz .LBB0_6
; %bb.5:                                ;   in Loop: Header=BB0_2 Depth=1
	v_cvt_f32_u32_e32 v3, s28
	s_sub_i32 s30, 0, s28
	v_rcp_iflag_f32_e32 v3, v3
	v_mul_f32_e32 v3, 0x4f7ffffe, v3
	v_cvt_u32_f32_e32 v3, v3
	v_mul_lo_u32 v4, s30, v3
	v_mul_hi_u32 v4, v3, v4
	v_add_u32_e32 v3, v3, v4
	v_mul_hi_u32 v3, v9, v3
	v_mul_lo_u32 v4, v3, s28
	v_add_u32_e32 v8, 1, v3
	v_sub_u32_e32 v4, v9, v4
	v_subrev_u32_e32 v12, s28, v4
	v_cmp_le_u32_e32 vcc, s28, v4
	v_cndmask_b32_e32 v4, v4, v12, vcc
	v_cndmask_b32_e32 v3, v3, v8, vcc
	v_add_u32_e32 v8, 1, v3
	v_cmp_le_u32_e32 vcc, s28, v4
	v_cndmask_b32_e32 v3, v3, v8, vcc
	v_mov_b32_e32 v4, v7
.LBB0_6:                                ;   in Loop: Header=BB0_2 Depth=1
	s_or_b64 exec, exec, s[0:1]
	v_mul_lo_u32 v8, v4, s28
	v_mul_lo_u32 v14, v3, s29
	v_mad_u64_u32 v[12:13], s[0:1], v3, s28, 0
	s_load_dwordx2 s[0:1], s[6:7], 0x0
	s_load_dwordx2 s[28:29], s[2:3], 0x0
	v_add3_u32 v8, v13, v14, v8
	v_sub_co_u32_e32 v9, vcc, v9, v12
	v_subb_co_u32_e32 v8, vcc, v10, v8, vcc
	s_waitcnt lgkmcnt(0)
	v_mul_lo_u32 v10, s0, v8
	v_mul_lo_u32 v12, s1, v9
	v_mad_u64_u32 v[5:6], s[0:1], s0, v9, v[5:6]
	v_mul_lo_u32 v8, s28, v8
	v_mul_lo_u32 v13, s29, v9
	v_mad_u64_u32 v[1:2], s[0:1], s28, v9, v[1:2]
	s_add_u32 s26, s26, 1
	s_addc_u32 s27, s27, 0
	s_add_u32 s2, s2, 8
	v_add3_u32 v2, v13, v2, v8
	s_addc_u32 s3, s3, 0
	v_mov_b32_e32 v8, s10
	s_add_u32 s6, s6, 8
	v_mov_b32_e32 v9, s11
	s_addc_u32 s7, s7, 0
	v_cmp_ge_u64_e32 vcc, s[26:27], v[8:9]
	s_add_u32 s24, s24, 8
	v_add3_u32 v6, v12, v6, v10
	s_addc_u32 s25, s25, 0
	s_cbranch_vccnz .LBB0_9
; %bb.7:                                ;   in Loop: Header=BB0_2 Depth=1
	v_mov_b32_e32 v10, v4
	v_mov_b32_e32 v9, v3
	s_branch .LBB0_2
.LBB0_8:
	v_mov_b32_e32 v1, v5
	v_mov_b32_e32 v3, v9
	;; [unrolled: 1-line block ×4, first 2 shown]
.LBB0_9:
	s_load_dwordx2 s[0:1], s[4:5], 0x28
	s_mov_b32 s4, 0x2828283
	v_mul_hi_u32 v7, v0, s4
	s_lshl_b64 s[2:3], s[10:11], 3
	s_add_u32 s4, s18, s2
	s_waitcnt lgkmcnt(0)
	v_cmp_gt_u64_e32 vcc, s[0:1], v[3:4]
	v_mul_u32_u24_e32 v7, 0x66, v7
	v_sub_u32_e32 v0, v0, v7
	s_movk_i32 s0, 0x42
	v_cmp_gt_u32_e64 s[0:1], s0, v0
	s_addc_u32 s5, s19, s3
	s_and_b64 s[10:11], vcc, s[0:1]
	v_mov_b32_e32 v16, 0
	v_mov_b32_e32 v15, 0
                                        ; implicit-def: $vgpr17
                                        ; implicit-def: $vgpr7
                                        ; implicit-def: $vgpr18
                                        ; implicit-def: $vgpr8
                                        ; implicit-def: $vgpr19
                                        ; implicit-def: $vgpr9
                                        ; implicit-def: $vgpr20
                                        ; implicit-def: $vgpr10
                                        ; implicit-def: $vgpr21
                                        ; implicit-def: $vgpr12
                                        ; implicit-def: $vgpr22
                                        ; implicit-def: $vgpr13
                                        ; implicit-def: $vgpr23
                                        ; implicit-def: $vgpr14
                                        ; implicit-def: $vgpr24
                                        ; implicit-def: $vgpr33
                                        ; implicit-def: $vgpr25
                                        ; implicit-def: $vgpr41
                                        ; implicit-def: $vgpr26
                                        ; implicit-def: $vgpr40
                                        ; implicit-def: $vgpr27
                                        ; implicit-def: $vgpr39
                                        ; implicit-def: $vgpr28
                                        ; implicit-def: $vgpr38
                                        ; implicit-def: $vgpr29
                                        ; implicit-def: $vgpr37
                                        ; implicit-def: $vgpr30
                                        ; implicit-def: $vgpr36
                                        ; implicit-def: $vgpr31
                                        ; implicit-def: $vgpr35
                                        ; implicit-def: $vgpr32
                                        ; implicit-def: $vgpr34
	s_and_saveexec_b64 s[6:7], s[10:11]
	s_cbranch_execz .LBB0_11
; %bb.10:
	s_add_u32 s2, s16, s2
	s_addc_u32 s3, s17, s3
	s_load_dwordx2 s[2:3], s[2:3], 0x0
	v_mad_u64_u32 v[7:8], s[10:11], s22, v0, 0
	v_lshlrev_b64 v[5:6], 2, v[5:6]
	v_add_u32_e32 v35, 0x252, v0
	s_waitcnt lgkmcnt(0)
	v_mul_lo_u32 v14, s3, v3
	v_mul_lo_u32 v15, s2, v4
	v_mad_u64_u32 v[9:10], s[2:3], s2, v3, 0
	v_mad_u64_u32 v[12:13], s[2:3], s23, v0, v[8:9]
	v_add3_u32 v10, v10, v15, v14
	v_lshlrev_b64 v[9:10], 2, v[9:10]
	v_mov_b32_e32 v8, v12
	v_mov_b32_e32 v12, s13
	v_add_co_u32_e64 v13, s[2:3], s12, v9
	v_add_u32_e32 v14, 0x42, v0
	v_addc_co_u32_e64 v12, s[2:3], v12, v10, s[2:3]
	v_mad_u64_u32 v[9:10], s[2:3], s22, v14, 0
	v_add_co_u32_e64 v41, s[2:3], v13, v5
	v_addc_co_u32_e64 v42, s[2:3], v12, v6, s[2:3]
	v_lshlrev_b64 v[5:6], 2, v[7:8]
	v_mov_b32_e32 v7, v10
	v_mad_u64_u32 v[7:8], s[2:3], s23, v14, v[7:8]
	v_add_u32_e32 v14, 0x84, v0
	v_mad_u64_u32 v[12:13], s[2:3], s22, v14, 0
	v_mov_b32_e32 v10, v7
	v_add_co_u32_e64 v5, s[2:3], v41, v5
	v_lshlrev_b64 v[7:8], 2, v[9:10]
	v_mov_b32_e32 v9, v13
	v_addc_co_u32_e64 v6, s[2:3], v42, v6, s[2:3]
	v_mad_u64_u32 v[9:10], s[2:3], s23, v14, v[9:10]
	v_add_u32_e32 v10, 0xc6, v0
	v_mad_u64_u32 v[14:15], s[2:3], s22, v10, 0
	v_add_co_u32_e64 v16, s[2:3], v41, v7
	v_mov_b32_e32 v13, v9
	v_mov_b32_e32 v9, v15
	v_addc_co_u32_e64 v17, s[2:3], v42, v8, s[2:3]
	v_mad_u64_u32 v[9:10], s[2:3], s23, v10, v[9:10]
	v_add_u32_e32 v10, 0x108, v0
	v_lshlrev_b64 v[7:8], 2, v[12:13]
	v_mad_u64_u32 v[12:13], s[2:3], s22, v10, 0
	v_add_co_u32_e64 v18, s[2:3], v41, v7
	v_mov_b32_e32 v15, v9
	v_mov_b32_e32 v9, v13
	v_addc_co_u32_e64 v19, s[2:3], v42, v8, s[2:3]
	v_mad_u64_u32 v[9:10], s[2:3], s23, v10, v[9:10]
	v_add_u32_e32 v10, 0x14a, v0
	v_lshlrev_b64 v[7:8], 2, v[14:15]
	;; [unrolled: 8-line block ×4, first 2 shown]
	v_mad_u64_u32 v[14:15], s[2:3], s22, v10, 0
	v_add_co_u32_e64 v24, s[2:3], v41, v7
	v_mov_b32_e32 v13, v9
	v_mov_b32_e32 v9, v15
	v_addc_co_u32_e64 v25, s[2:3], v42, v8, s[2:3]
	v_mad_u64_u32 v[9:10], s[2:3], s23, v10, v[9:10]
	v_lshlrev_b64 v[7:8], 2, v[12:13]
	v_add_co_u32_e64 v26, s[2:3], v41, v7
	v_mov_b32_e32 v15, v9
	v_add_u32_e32 v9, 0x210, v0
	v_addc_co_u32_e64 v27, s[2:3], v42, v8, s[2:3]
	v_mad_u64_u32 v[28:29], s[2:3], s22, v9, 0
	v_lshlrev_b64 v[7:8], 2, v[14:15]
	v_add_co_u32_e64 v30, s[2:3], v41, v7
	v_mov_b32_e32 v7, v29
	v_addc_co_u32_e64 v31, s[2:3], v42, v8, s[2:3]
	v_mad_u64_u32 v[32:33], s[2:3], s23, v9, v[7:8]
	v_mad_u64_u32 v[33:34], s[2:3], s22, v35, 0
	global_load_dword v15, v[5:6], off
	global_load_dword v7, v[16:17], off
	;; [unrolled: 1-line block ×8, first 2 shown]
	v_add_u32_e32 v21, 0x294, v0
	v_mov_b32_e32 v16, v34
	v_mad_u64_u32 v[16:17], s[2:3], s23, v35, v[16:17]
	v_mad_u64_u32 v[17:18], s[2:3], s22, v21, 0
	v_mov_b32_e32 v29, v32
	v_lshlrev_b64 v[5:6], 2, v[28:29]
	v_mov_b32_e32 v34, v16
	v_add_co_u32_e64 v5, s[2:3], v41, v5
	v_mov_b32_e32 v16, v18
	v_addc_co_u32_e64 v6, s[2:3], v42, v6, s[2:3]
	v_mad_u64_u32 v[21:22], s[2:3], s23, v21, v[16:17]
	v_add_u32_e32 v24, 0x2d6, v0
	v_mad_u64_u32 v[22:23], s[2:3], s22, v24, 0
	v_lshlrev_b64 v[19:20], 2, v[33:34]
	v_mov_b32_e32 v18, v21
	v_add_co_u32_e64 v19, s[2:3], v41, v19
	v_lshlrev_b64 v[16:17], 2, v[17:18]
	v_mov_b32_e32 v18, v23
	v_addc_co_u32_e64 v20, s[2:3], v42, v20, s[2:3]
	v_mad_u64_u32 v[23:24], s[2:3], s23, v24, v[18:19]
	v_add_u32_e32 v26, 0x318, v0
	v_mad_u64_u32 v[24:25], s[2:3], s22, v26, 0
	v_add_co_u32_e64 v16, s[2:3], v41, v16
	v_mov_b32_e32 v18, v25
	v_addc_co_u32_e64 v17, s[2:3], v42, v17, s[2:3]
	v_mad_u64_u32 v[25:26], s[2:3], s23, v26, v[18:19]
	v_add_u32_e32 v28, 0x35a, v0
	v_mad_u64_u32 v[26:27], s[2:3], s22, v28, 0
	v_lshlrev_b64 v[21:22], 2, v[22:23]
	v_add_u32_e32 v30, 0x39c, v0
	v_add_co_u32_e64 v21, s[2:3], v41, v21
	v_mov_b32_e32 v18, v27
	v_addc_co_u32_e64 v22, s[2:3], v42, v22, s[2:3]
	v_mad_u64_u32 v[27:28], s[2:3], s23, v28, v[18:19]
	v_mad_u64_u32 v[28:29], s[2:3], s22, v30, 0
	v_lshlrev_b64 v[23:24], 2, v[24:25]
	v_add_u32_e32 v32, 0x3de, v0
	v_add_co_u32_e64 v23, s[2:3], v41, v23
	v_mov_b32_e32 v18, v29
	v_addc_co_u32_e64 v24, s[2:3], v42, v24, s[2:3]
	v_mad_u64_u32 v[29:30], s[2:3], s23, v30, v[18:19]
	v_mad_u64_u32 v[30:31], s[2:3], s22, v32, 0
	v_lshlrev_b64 v[25:26], 2, v[26:27]
	v_lshlrev_b64 v[27:28], 2, v[28:29]
	v_add_co_u32_e64 v25, s[2:3], v41, v25
	v_mov_b32_e32 v18, v31
	v_addc_co_u32_e64 v26, s[2:3], v42, v26, s[2:3]
	v_mad_u64_u32 v[31:32], s[2:3], s23, v32, v[18:19]
	v_add_co_u32_e64 v27, s[2:3], v41, v27
	v_add_u32_e32 v33, 0x420, v0
	v_addc_co_u32_e64 v28, s[2:3], v42, v28, s[2:3]
	v_lshlrev_b64 v[29:30], 2, v[30:31]
	v_mad_u64_u32 v[31:32], s[2:3], s22, v33, 0
	v_add_co_u32_e64 v29, s[2:3], v41, v29
	v_mov_b32_e32 v18, v32
	v_addc_co_u32_e64 v30, s[2:3], v42, v30, s[2:3]
	v_mad_u64_u32 v[32:33], s[2:3], s23, v33, v[18:19]
	global_load_dword v33, v[5:6], off
	global_load_dword v34, v[19:20], off
	;; [unrolled: 1-line block ×8, first 2 shown]
	s_waitcnt vmcnt(15)
	v_lshrrev_b32_e32 v16, 16, v15
	v_lshlrev_b64 v[5:6], 2, v[31:32]
	s_waitcnt vmcnt(14)
	v_lshrrev_b32_e32 v17, 16, v7
	v_add_co_u32_e64 v5, s[2:3], v41, v5
	v_addc_co_u32_e64 v6, s[2:3], v42, v6, s[2:3]
	global_load_dword v41, v[5:6], off
	s_waitcnt vmcnt(14)
	v_lshrrev_b32_e32 v18, 16, v8
	s_waitcnt vmcnt(13)
	v_lshrrev_b32_e32 v19, 16, v9
	;; [unrolled: 2-line block ×15, first 2 shown]
.LBB0_11:
	s_or_b64 exec, exec, s[6:7]
	v_sub_f16_e32 v44, v17, v25
	v_add_f16_e32 v42, v7, v41
	s_mov_b32 s2, 0xb8d2
	v_mul_f16_e32 v58, 0xba62, v44
	v_sub_f16_e32 v45, v18, v26
	v_fma_f16 v5, v42, s2, -v58
	v_add_f16_e32 v43, v8, v40
	s_mov_b32 s2, 0xb461
	v_mul_f16_e32 v60, 0x3bb2, v45
	v_sub_f16_e32 v47, v19, v27
	v_add_f16_e32 v5, v15, v5
	v_fma_f16 v6, v43, s2, -v60
	v_add_f16_e32 v46, v9, v39
	s_movk_i32 s2, 0x3b76
	v_mul_f16_e32 v59, 0xb5c8, v47
	v_sub_f16_e32 v49, v20, v28
	v_add_f16_e32 v5, v5, v6
	v_fma_f16 v6, v46, s2, -v59
	s_mov_b32 s2, 0xbacd
	v_add_f16_e32 v48, v10, v38
	v_mul_f16_e32 v61, 0xb836, v49
	v_sub_f16_e32 v51, v21, v29
	v_add_f16_e32 v5, v5, v6
	v_fma_f16 v6, v48, s2, -v61
	s_movk_i32 s2, 0x2de8
	v_add_f16_e32 v50, v12, v37
	v_mul_f16_e32 v62, 0x3bf7, v51
	v_sub_f16_e32 v53, v22, v30
	v_add_f16_e32 v5, v5, v6
	v_fma_f16 v6, v50, s2, -v62
	s_movk_i32 s2, 0x39e9
	v_add_f16_e32 v52, v13, v36
	v_mul_f16_e32 v63, 0xb964, v53
	v_sub_f16_e32 v55, v23, v31
	v_add_f16_e32 v5, v5, v6
	v_fma_f16 v6, v52, s2, -v63
	s_mov_b32 s2, 0xbbdd
	v_add_f16_e32 v54, v14, v35
	v_mul_f16_e32 v64, 0xb1e1, v55
	v_sub_f16_e32 v57, v24, v32
	v_add_f16_e32 v5, v5, v6
	v_fma_f16 v6, v54, s2, -v64
	s_movk_i32 s2, 0x3722
	v_add_f16_e32 v56, v33, v34
	v_mul_f16_e32 v65, 0x3b29, v57
	v_add_f16_e32 v5, v5, v6
	v_fma_f16 v6, v56, s2, -v65
	v_add_f16_e32 v5, v5, v6
	v_and_b32_e32 v6, 1, v11
	v_mov_b32_e32 v11, 0x462
	v_cmp_eq_u32_e64 s[2:3], 1, v6
	v_cndmask_b32_e64 v6, 0, v11, s[2:3]
	s_movk_i32 s6, 0x3bb2
	s_movk_i32 s7, 0x3bf7
	;; [unrolled: 1-line block ×3, first 2 shown]
	v_lshlrev_b32_e32 v6, 1, v6
	s_and_saveexec_b64 s[2:3], s[0:1]
	s_cbranch_execz .LBB0_13
; %bb.12:
	s_mov_b32 s23, 0x39e93b76
	v_pk_mul_f16 v82, v42, s23 op_sel_hi:[0,1]
	s_mov_b32 s23, 0xb964b5c8
	s_mov_b32 s24, 0x2de839e9
	v_pk_mul_f16 v83, v43, s24 op_sel_hi:[0,1]
	s_mov_b32 s24, 0xbbf7b964
	s_mov_b32 s25, 0xb8d23722
	v_pk_fma_f16 v66, v44, s23, v82 op_sel_hi:[0,1,1]
	v_pk_mul_f16 v84, v46, s25 op_sel_hi:[0,1]
	s_mov_b32 s25, 0xba62bb29
	s_mov_b32 s26, 0xbbdd2de8
	v_pk_add_f16 v66, v15, v66 op_sel_hi:[0,1]
	v_pk_fma_f16 v67, v45, s24, v83 op_sel_hi:[0,1,1]
	v_pk_mul_f16 v85, v48, s26 op_sel_hi:[0,1]
	s_mov_b32 s26, 0xb1e1bbf7
	s_mov_b32 s27, 0xbacdb461
	v_pk_add_f16 v66, v66, v67
	v_pk_fma_f16 v67, v47, s25, v84 op_sel_hi:[0,1,1]
	v_pk_mul_f16 v86, v50, s27 op_sel_hi:[0,1]
	s_mov_b32 s27, 0x3836bbb2
	s_mov_b32 s28, 0xb461b8d2
	v_pk_add_f16 v66, v66, v67
	;; [unrolled: 5-line block ×4, first 2 shown]
	v_pk_fma_f16 v67, v53, s28, v87 op_sel_hi:[0,1,1]
	s_mov_b32 s11, 0x2de83722
	v_pk_mul_f16 v89, v56, s30 op_sel_hi:[0,1]
	s_mov_b32 s30, 0x35c8b1e1
	v_pk_add_f16 v66, v66, v67
	v_pk_fma_f16 v67, v55, s29, v88 op_sel_hi:[0,1,1]
	v_pk_mul_f16 v74, v42, s11 op_sel_hi:[0,1]
	s_mov_b32 s19, 0xbbf7bb29
	s_mov_b32 s11, 0xbbddb8d2
	v_pk_add_f16 v66, v66, v67
	v_pk_fma_f16 v67, v57, s30, v89 op_sel_hi:[0,1,1]
	v_pk_mul_f16 v75, v43, s11 op_sel_hi:[0,1]
	s_mov_b32 s22, 0xb1e1ba62
	;; [unrolled: 5-line block ×3, first 2 shown]
	s_mov_b32 s11, 0x3b76b461
	v_pk_add_f16 v67, v15, v67 op_sel_hi:[0,1]
	v_pk_fma_f16 v90, v45, s22, v75 op_sel_hi:[0,1,1]
	v_pk_mul_f16 v77, v48, s11 op_sel_hi:[0,1]
	s_mov_b32 s11, 0x35c83bb2
	s_mov_b32 s13, 0x372239e9
	v_pk_add_f16 v67, v67, v90
	v_pk_fma_f16 v90, v47, s12, v76 op_sel_hi:[0,1,1]
	v_pk_mul_f16 v78, v50, s13 op_sel_hi:[0,1]
	s_mov_b32 s13, 0xbb293964
	s_mov_b32 s16, 0xbacd3b76
	v_pk_add_f16 v67, v67, v90
	v_pk_fma_f16 v90, v49, s11, v77 op_sel_hi:[0,1,1]
	v_pk_mul_f16 v79, v52, s16 op_sel_hi:[0,1]
	s_mov_b32 s16, 0xb836b5c8
	s_mov_b32 s17, 0xb8d22de8
	v_pk_add_f16 v67, v67, v90
	v_pk_fma_f16 v90, v51, s13, v78 op_sel_hi:[0,1,1]
	v_pk_mul_f16 v80, v54, s17 op_sel_hi:[0,1]
	s_mov_b32 s17, 0x3a62bbf7
	s_mov_b32 s18, 0x39e9bacd
	v_pk_add_f16 v67, v67, v90
	v_pk_fma_f16 v90, v53, s16, v79 op_sel_hi:[0,1,1]
	v_pk_mul_f16 v81, v56, s18 op_sel_hi:[0,1]
	s_mov_b32 s18, 0x3964b836
	v_pk_add_f16 v67, v67, v90
	v_pk_fma_f16 v90, v55, s17, v80 op_sel_hi:[0,1,1]
	v_pk_add_f16 v67, v67, v90
	v_pk_fma_f16 v90, v57, s18, v81 op_sel_hi:[0,1,1]
	v_mul_f16_e32 v11, 0xb8d2, v42
	v_mul_f16_e32 v73, 0xb461, v42
	v_pk_add_f16 v67, v67, v90
	v_mul_f16_e32 v90, 0xbbb2, v44
	s_mov_b32 s23, 0x5040100
	v_perm_b32 v58, v58, v90, s23
	v_perm_b32 v11, v11, v73, s23
	v_mul_f16_e32 v68, 0xb461, v43
	v_mul_f16_e32 v91, 0xbacd, v43
	v_pk_add_f16 v11, v58, v11
	v_mul_f16_e32 v58, 0x3836, v45
	v_perm_b32 v60, v60, v58, s23
	v_perm_b32 v68, v68, v91, s23
	v_pk_add_f16 v60, v60, v68
	v_pk_add_f16 v11, v15, v11 op_sel_hi:[0,1]
	v_mul_f16_e32 v69, 0x3b76, v46
	v_mul_f16_e32 v92, 0x39e9, v46
	v_pk_add_f16 v11, v11, v60
	v_mul_f16_e32 v60, 0x3964, v47
	v_perm_b32 v59, v59, v60, s23
	v_perm_b32 v68, v69, v92, s23
	v_pk_add_f16 v59, v59, v68
	v_mul_f16_e32 v70, 0xbacd, v48
	v_mul_f16_e32 v93, 0x3722, v48
	v_pk_add_f16 v11, v11, v59
	v_mul_f16_e32 v59, 0xbb29, v49
	v_perm_b32 v61, v61, v59, s23
	v_perm_b32 v68, v70, v93, s23
	v_pk_add_f16 v61, v61, v68
	;; [unrolled: 7-line block ×4, first 2 shown]
	v_mul_f16_e32 v68, 0xbbdd, v54
	v_pk_add_f16 v11, v11, v63
	v_mul_f16_e32 v63, 0xb5c8, v55
	v_mul_f16_e32 v72, 0x3b76, v54
	v_perm_b32 v64, v64, v63, s23
	v_perm_b32 v68, v68, v72, s23
	v_pk_add_f16 v64, v64, v68
	v_pk_add_f16 v11, v11, v64
	v_mul_f16_e32 v64, 0xba62, v57
	v_mul_f16_e32 v68, 0x3722, v56
	;; [unrolled: 1-line block ×3, first 2 shown]
	v_perm_b32 v65, v65, v64, s23
	v_perm_b32 v68, v68, v94, s23
	v_pk_add_f16 v65, v65, v68
	s_mov_b32 s25, 0xb1e1b836
	v_pk_add_f16 v68, v11, v65
	s_mov_b32 s24, 0xbbddbacd
	v_pk_mul_f16 v11, v44, s25 op_sel_hi:[0,1]
	s_mov_b32 s26, 0x35c83b29
	s_mov_b32 s25, 0x3b763722
	v_pk_fma_f16 v65, v42, s24, v11 op_sel_hi:[0,1,1]
	v_pk_mul_f16 v95, v45, s26 op_sel_hi:[0,1]
	s_mov_b32 s27, 0xb836bbf7
	v_pk_add_f16 v65, v15, v65 op_sel_hi:[0,1]
	v_pk_fma_f16 v69, v43, s25, v95 op_sel_hi:[0,1,1]
	s_mov_b32 s26, 0xbacd2de8
	v_pk_mul_f16 v96, v47, s27 op_sel_hi:[0,1]
	s_mov_b32 s28, 0x39643a62
	v_pk_add_f16 v65, v65, v69
	v_pk_fma_f16 v69, v46, s26, v96 op_sel_hi:[0,1,1]
	s_mov_b32 s27, 0x39e9b8d2
	v_pk_mul_f16 v97, v49, s28 op_sel_hi:[0,1]
	s_mov_b32 s29, 0xba62b5c8
	v_pk_add_f16 v65, v65, v69
	;; [unrolled: 5-line block ×5, first 2 shown]
	v_pk_fma_f16 v69, v54, s30, v100 op_sel_hi:[0,1,1]
	s_mov_b32 s31, 0x2de8b461
	v_pk_mul_f16 v101, v57, s33 op_sel_hi:[0,1]
	v_pk_add_f16 v65, v65, v69
	v_pk_fma_f16 v69, v56, s31, v101 op_sel_hi:[0,1,1]
	v_pk_add_f16 v69, v65, v69
	v_mul_u32_u24_e32 v65, 34, v0
	v_add3_u32 v65, 0, v65, v6
	s_movk_i32 s34, 0x35c8
	ds_write_b128 v65, v[66:69] offset:2
	s_movk_i32 s33, 0x3964
	v_fma_f16 v66, v44, s34, v82
	v_add_f16_e32 v66, v15, v66
	v_fma_f16 v67, v45, s33, v83
	v_add_f16_e32 v66, v66, v67
	;; [unrolled: 2-line block ×4, first 2 shown]
	v_fma_f16 v67, v51, s6, v86
	s_movk_i32 s7, 0x3a62
	v_add_f16_e32 v66, v66, v67
	s_movk_i32 s6, 0x3836
	v_fma_f16 v67, v53, s7, v87
	v_add_f16_e32 v66, v66, v67
	v_fma_f16 v68, v55, s6, v88
	s_movk_i32 s6, 0x31e1
	v_add_f16_e32 v66, v66, v68
	v_fma_f16 v69, v57, s6, v89
	v_add_f16_e32 v66, v66, v69
	v_add_f16_e32 v69, v15, v7
	;; [unrolled: 1-line block ×14, first 2 shown]
	v_pk_mul_f16 v67, v44, s19 op_sel_hi:[0,1]
	v_add_f16_e32 v69, v39, v69
	s_mov_b32 s6, 0xffff
	v_pk_mul_f16 v68, v45, s22 op_sel_hi:[0,1]
	v_add_f16_e32 v69, v40, v69
	v_bfi_b32 v73, s6, v73, v74
	v_bfi_b32 v67, s6, v90, v67
	v_add_f16_e32 v69, v41, v69
	v_pk_add_f16 v67, v73, v67 neg_lo:[0,1] neg_hi:[0,1]
	v_bfi_b32 v73, s6, v91, v75
	v_bfi_b32 v58, s6, v58, v68
	ds_write_b16 v65, v69
	v_pk_mul_f16 v69, v47, s12 op_sel_hi:[0,1]
	v_pk_fma_f16 v11, v42, s24, v11 op_sel_hi:[0,1,1] neg_lo:[0,0,1] neg_hi:[0,0,1]
	v_pk_add_f16 v67, v15, v67 op_sel_hi:[0,1]
	v_pk_add_f16 v58, v73, v58 neg_lo:[0,1] neg_hi:[0,1]
	v_pk_add_f16 v11, v15, v11 op_sel_hi:[0,1]
	v_pk_fma_f16 v82, v43, s25, v95 op_sel_hi:[0,1,1] neg_lo:[0,0,1] neg_hi:[0,0,1]
	v_pk_add_f16 v58, v67, v58
	v_bfi_b32 v67, s6, v92, v76
	v_bfi_b32 v60, s6, v60, v69
	v_pk_add_f16 v11, v11, v82
	v_pk_mul_f16 v82, v49, s11 op_sel_hi:[0,1]
	v_pk_add_f16 v60, v67, v60 neg_lo:[0,1] neg_hi:[0,1]
	v_pk_fma_f16 v83, v46, s26, v96 op_sel_hi:[0,1,1] neg_lo:[0,0,1] neg_hi:[0,0,1]
	v_pk_add_f16 v58, v58, v60
	v_bfi_b32 v60, s6, v93, v77
	v_bfi_b32 v59, s6, v59, v82
	v_pk_add_f16 v11, v11, v83
	v_pk_mul_f16 v83, v51, s13 op_sel_hi:[0,1]
	v_pk_add_f16 v59, v60, v59 neg_lo:[0,1] neg_hi:[0,1]
	;; [unrolled: 7-line block ×5, first 2 shown]
	s_mov_b32 s7, 0x39643b29
	v_pk_add_f16 v58, v58, v59
	v_bfi_b32 v59, s6, v94, v81
	v_bfi_b32 v60, s6, v64, v86
	s_mov_b32 s6, 0x39e93722
	v_pk_mul_f16 v44, v44, s7 op_sel_hi:[0,1]
	v_pk_fma_f16 v42, v42, s6, v44 op_sel_hi:[0,1,1]
	s_mov_b32 s7, 0x3bf73a62
	v_pk_add_f16 v15, v15, v42 op_sel_hi:[0,1]
	s_mov_b32 s6, 0x2de8b8d2
	v_pk_mul_f16 v42, v45, s7 op_sel_hi:[0,1]
	v_pk_fma_f16 v42, v43, s6, v42 op_sel_hi:[0,1,1]
	s_mov_b32 s7, 0x3a62b1e1
	v_pk_add_f16 v15, v15, v42
	s_mov_b32 s6, 0xb8d2bbdd
	v_pk_mul_f16 v42, v47, s7 op_sel_hi:[0,1]
	v_pk_fma_f16 v42, v46, s6, v42 op_sel_hi:[0,1,1]
	s_mov_b32 s7, 0x31e1bbb2
	v_pk_add_f16 v15, v15, v42
	;; [unrolled: 5-line block ×5, first 2 shown]
	s_mov_b32 s6, 0x37222de8
	v_pk_mul_f16 v42, v55, s7 op_sel_hi:[0,1]
	v_pk_fma_f16 v42, v54, s6, v42 op_sel_hi:[0,1,1]
	s_mov_b32 s7, 0xb5c83836
	v_pk_fma_f16 v87, v54, s30, v100 op_sel_hi:[0,1,1] neg_lo:[0,0,1] neg_hi:[0,0,1]
	v_pk_add_f16 v15, v15, v42
	s_mov_b32 s6, 0x3b76bacd
	v_pk_mul_f16 v42, v57, s7 op_sel_hi:[0,1]
	v_pk_add_f16 v11, v11, v87
	v_pk_fma_f16 v87, v56, s31, v101 op_sel_hi:[0,1,1] neg_lo:[0,0,1] neg_hi:[0,0,1]
	v_pk_add_f16 v59, v59, v60 neg_lo:[0,1] neg_hi:[0,1]
	v_pk_fma_f16 v42, v56, s6, v42 op_sel_hi:[0,1,1]
	v_pk_add_f16 v11, v11, v87
	v_pk_add_f16 v58, v58, v59
	;; [unrolled: 1-line block ×3, first 2 shown]
	v_perm_b32 v43, v58, v5, s23
	v_alignbit_b32 v44, v15, v58, 16
	v_alignbit_b32 v45, v66, v15, 16
	;; [unrolled: 1-line block ×3, first 2 shown]
	ds_write_b128 v65, v[42:45] offset:18
.LBB0_13:
	s_or_b64 exec, exec, s[2:3]
	v_sub_f16_e32 v62, v7, v41
	s_mov_b32 s2, 0xba62bbb2
	v_add_f16_e32 v47, v17, v25
	v_sub_f16_e32 v55, v8, v40
	v_sub_f16_e32 v56, v9, v39
	s_mov_b32 s6, 0xb8d2b461
	v_pk_mul_f16 v39, v62, s2 op_sel_hi:[0,1]
	s_mov_b32 s2, 0x3bb23836
	v_add_f16_e32 v48, v18, v26
	s_mov_b32 s7, 0xb461bacd
	v_pk_mul_f16 v40, v55, s2 op_sel_hi:[0,1]
	s_mov_b32 s2, 0xb5c83964
	v_pk_fma_f16 v7, v47, s6, v39 op_sel_hi:[0,1,1]
	v_add_f16_e32 v49, v19, v27
	v_sub_f16_e32 v57, v10, v38
	s_mov_b32 s10, 0x3b7639e9
	v_pk_mul_f16 v41, v56, s2 op_sel_hi:[0,1]
	s_mov_b32 s2, 0xb836bb29
	v_pk_add_f16 v7, v16, v7 op_sel_hi:[0,1]
	v_pk_fma_f16 v8, v48, s7, v40 op_sel_hi:[0,1,1]
	v_add_f16_e32 v50, v20, v28
	v_sub_f16_e32 v58, v12, v37
	s_mov_b32 s11, 0xbacd3722
	v_pk_mul_f16 v42, v57, s2 op_sel_hi:[0,1]
	s_mov_b32 s2, 0x3bf7b1e1
	v_pk_add_f16 v7, v7, v8
	v_pk_fma_f16 v8, v49, s10, v41 op_sel_hi:[0,1,1]
	v_add_f16_e32 v51, v21, v29
	v_sub_f16_e32 v59, v13, v36
	s_mov_b32 s12, 0x2de8bbdd
	v_pk_mul_f16 v43, v58, s2 op_sel_hi:[0,1]
	s_mov_b32 s2, 0xb9643bf7
	v_pk_add_f16 v7, v7, v8
	;; [unrolled: 7-line block ×3, first 2 shown]
	v_pk_fma_f16 v8, v51, s12, v43 op_sel_hi:[0,1,1]
	v_add_f16_e32 v53, v23, v31
	s_mov_b32 s16, 0xbbdd3b76
	v_pk_mul_f16 v45, v60, s2 op_sel_hi:[0,1]
	v_pk_add_f16 v7, v7, v8
	v_pk_fma_f16 v8, v52, s13, v44 op_sel_hi:[0,1,1]
	v_pk_add_f16 v7, v7, v8
	v_pk_fma_f16 v8, v53, s16, v45 op_sel_hi:[0,1,1]
	v_pk_add_f16 v9, v7, v8
	v_lshlrev_b32_e32 v7, 1, v0
	v_add3_u32 v8, 0, v6, v7
	v_add_u32_e32 v38, 0, v7
	v_sub_f16_e32 v61, v33, v34
	s_waitcnt lgkmcnt(0)
	s_barrier
	v_add_u32_e32 v7, v38, v6
	ds_read_u16 v12, v8
	ds_read_u16 v37, v7 offset:204
	ds_read_u16 v36, v7 offset:408
	;; [unrolled: 1-line block ×10, first 2 shown]
	s_mov_b32 s2, 0x3b29ba62
	v_add_f16_e32 v54, v24, v32
	s_mov_b32 s17, 0x3722b8d2
	v_pk_mul_f16 v46, v61, s2 op_sel_hi:[0,1]
	v_pk_fma_f16 v63, v54, s17, v46 op_sel_hi:[0,1,1]
	v_pk_add_f16 v9, v9, v63
	s_waitcnt lgkmcnt(0)
	s_barrier
	s_and_saveexec_b64 s[2:3], s[0:1]
	s_cbranch_execz .LBB0_15
; %bb.14:
	s_mov_b32 s0, 0x5040100
	v_perm_b32 v64, v16, v16, s0
	v_add_f16_e32 v16, v16, v17
	v_add_f16_e32 v16, v16, v18
	;; [unrolled: 1-line block ×13, first 2 shown]
	v_pack_b32_f16 v62, v62, v62
	v_add_f16_e32 v16, v27, v16
	s_mov_b32 s1, 0xb964b5c8
	v_pack_b32_f16 v63, v47, v47
	v_pack_b32_f16 v55, v55, v55
	v_pk_mul_f16 v47, v47, s6 op_sel_hi:[0,1]
	v_add_f16_e32 v16, v26, v16
	s_mov_b32 s0, 0x39e93b76
	v_pk_mul_f16 v17, v62, s1
	s_mov_b32 s6, 0xbbf7b964
	v_pack_b32_f16 v65, v48, v48
	v_add_f16_e32 v20, v25, v16
	v_pk_fma_f16 v16, v63, s0, v17 neg_lo:[0,0,1] neg_hi:[0,0,1]
	s_mov_b32 s1, 0x2de839e9
	v_pk_mul_f16 v18, v55, s6
	v_pack_b32_f16 v56, v56, v56
	v_pk_mul_f16 v48, v48, s7 op_sel_hi:[0,1]
	v_pk_add_f16 v16, v64, v16
	v_pk_fma_f16 v19, v65, s1, v18 neg_lo:[0,0,1] neg_hi:[0,0,1]
	s_mov_b32 s7, 0xba62bb29
	v_pack_b32_f16 v66, v49, v49
	v_pk_add_f16 v16, v16, v19
	s_mov_b32 s6, 0xb8d23722
	v_pk_mul_f16 v19, v56, s7
	v_pack_b32_f16 v57, v57, v57
	v_pk_mul_f16 v49, v49, s10 op_sel_hi:[0,1]
	v_pk_fma_f16 v21, v66, s6, v19 neg_lo:[0,0,1] neg_hi:[0,0,1]
	s_mov_b32 s10, 0xb1e1bbf7
	v_pack_b32_f16 v67, v50, v50
	v_pk_add_f16 v16, v16, v21
	s_mov_b32 s7, 0xbbdd2de8
	v_pk_mul_f16 v21, v57, s10
	v_pack_b32_f16 v58, v58, v58
	v_pk_mul_f16 v50, v50, s11 op_sel_hi:[0,1]
	v_pk_fma_f16 v22, v67, s7, v21 neg_lo:[0,0,1] neg_hi:[0,0,1]
	s_mov_b32 s11, 0x3836bbb2
	v_pack_b32_f16 v68, v51, v51
	v_pk_add_f16 v16, v16, v22
	s_mov_b32 s10, 0xbacdb461
	v_pk_mul_f16 v22, v58, s11
	v_pk_fma_f16 v17, v63, s0, v17
	v_pack_b32_f16 v59, v59, v59
	v_pk_mul_f16 v51, v51, s12 op_sel_hi:[0,1]
	v_pk_fma_f16 v23, v68, s10, v22 neg_lo:[0,0,1] neg_hi:[0,0,1]
	s_mov_b32 s12, 0x3bb2ba62
	v_pk_add_f16 v17, v64, v17
	v_pk_fma_f16 v18, v65, s1, v18
	v_pack_b32_f16 v69, v52, v52
	v_pk_add_f16 v16, v16, v23
	s_mov_b32 s11, 0xb461b8d2
	v_pk_mul_f16 v23, v59, s12
	v_pk_add_f16 v17, v17, v18
	v_pk_fma_f16 v18, v66, s6, v19
	v_pack_b32_f16 v60, v60, v60
	v_pk_mul_f16 v52, v52, s13 op_sel_hi:[0,1]
	v_pk_fma_f16 v24, v69, s11, v23 neg_lo:[0,0,1] neg_hi:[0,0,1]
	s_mov_b32 s13, 0x3b29b836
	v_pk_add_f16 v17, v17, v18
	v_pk_fma_f16 v18, v67, s7, v21
	v_pack_b32_f16 v70, v53, v53
	v_pk_add_f16 v16, v16, v24
	s_mov_b32 s12, 0x3722bacd
	v_pk_mul_f16 v24, v60, s13
	v_pk_add_f16 v17, v17, v18
	;; [unrolled: 12-line block ×3, first 2 shown]
	v_pk_fma_f16 v18, v70, s12, v24
	v_pk_add_f16 v17, v17, v18
	v_pk_fma_f16 v18, v71, s13, v25
	s_mov_b32 s1, 0xbbf7bb29
	v_pk_add_f16 v21, v17, v18
	s_mov_b32 s0, 0x2de83722
	v_pk_mul_f16 v18, v62, s1
	s_mov_b32 s6, 0xb1e1ba62
	v_pk_fma_f16 v17, v63, s0, v18 neg_lo:[0,0,1] neg_hi:[0,0,1]
	s_mov_b32 s1, 0xbbddb8d2
	v_pk_mul_f16 v19, v55, s6
	v_pk_add_f16 v17, v64, v17
	v_pk_fma_f16 v22, v65, s1, v19 neg_lo:[0,0,1] neg_hi:[0,0,1]
	s_mov_b32 s7, 0x3bb231e1
	v_pk_add_f16 v17, v17, v22
	s_mov_b32 s6, 0xb461bbdd
	v_pk_mul_f16 v22, v56, s7
	v_pk_fma_f16 v23, v66, s6, v22 neg_lo:[0,0,1] neg_hi:[0,0,1]
	s_mov_b32 s10, 0x35c83bb2
	v_pk_add_f16 v17, v17, v23
	s_mov_b32 s7, 0x3b76b461
	v_pk_mul_f16 v23, v57, s10
	;; [unrolled: 5-line block ×3, first 2 shown]
	v_pk_fma_f16 v18, v63, s0, v18
	v_pk_fma_f16 v26, v71, s13, v25 neg_lo:[0,0,1] neg_hi:[0,0,1]
	v_pk_fma_f16 v25, v68, s10, v24 neg_lo:[0,0,1] neg_hi:[0,0,1]
	s_mov_b32 s12, 0xb836b5c8
	v_pk_add_f16 v18, v64, v18
	v_pk_fma_f16 v19, v65, s1, v19
	v_pk_add_f16 v17, v17, v25
	s_mov_b32 s11, 0xbacd3b76
	v_pk_mul_f16 v25, v59, s12
	v_pk_add_f16 v18, v18, v19
	v_pk_fma_f16 v19, v66, s6, v22
	v_pk_add_f16 v16, v16, v26
	v_pk_fma_f16 v26, v69, s11, v25 neg_lo:[0,0,1] neg_hi:[0,0,1]
	s_mov_b32 s13, 0x3a62bbf7
	v_pk_add_f16 v18, v18, v19
	v_pk_fma_f16 v19, v67, s7, v23
	v_pk_add_f16 v17, v17, v26
	s_mov_b32 s12, 0xb8d22de8
	v_pk_mul_f16 v26, v60, s13
	v_pk_add_f16 v18, v18, v19
	v_pk_fma_f16 v19, v68, s10, v24
	v_pk_fma_f16 v27, v70, s12, v26 neg_lo:[0,0,1] neg_hi:[0,0,1]
	s_mov_b32 s16, 0x3964b836
	v_pk_add_f16 v18, v18, v19
	v_pk_fma_f16 v19, v69, s11, v25
	v_pk_add_f16 v17, v17, v27
	s_mov_b32 s13, 0x39e9bacd
	v_pk_mul_f16 v27, v61, s16
	v_pk_add_f16 v18, v18, v19
	v_pk_fma_f16 v19, v70, s12, v26
	v_pk_add_f16 v18, v18, v19
	v_pk_fma_f16 v19, v71, s13, v27
	v_pk_add_f16 v22, v18, v19
	v_pk_add_f16 v18, v47, v39 neg_lo:[0,1] neg_hi:[0,1]
	v_pk_add_f16 v18, v64, v18
	v_pk_add_f16 v19, v48, v40 neg_lo:[0,1] neg_hi:[0,1]
	;; [unrolled: 2-line block ×6, first 2 shown]
	v_pk_mul_f16 v54, v54, s17 op_sel_hi:[0,1]
	v_pk_add_f16 v18, v18, v19
	v_pk_add_f16 v19, v53, v45 neg_lo:[0,1] neg_hi:[0,1]
	s_mov_b32 s1, 0xb1e1b836
	v_pk_add_f16 v18, v18, v19
	v_pk_add_f16 v19, v54, v46 neg_lo:[0,1] neg_hi:[0,1]
	s_mov_b32 s0, 0xbbddbacd
	v_pk_mul_f16 v23, v62, s1
	s_mov_b32 s6, 0x35c83b29
	v_pk_add_f16 v18, v18, v19
	v_pk_fma_f16 v19, v63, s0, v23 neg_lo:[0,0,1] neg_hi:[0,0,1]
	s_mov_b32 s1, 0x3b763722
	v_pk_mul_f16 v24, v55, s6
	v_pk_add_f16 v19, v64, v19
	v_pk_fma_f16 v25, v65, s1, v24 neg_lo:[0,0,1] neg_hi:[0,0,1]
	s_mov_b32 s7, 0xb836bbf7
	v_pk_add_f16 v19, v19, v25
	s_mov_b32 s6, 0xbacd2de8
	v_pk_mul_f16 v25, v56, s7
	v_pk_fma_f16 v26, v66, s6, v25 neg_lo:[0,0,1] neg_hi:[0,0,1]
	s_mov_b32 s10, 0x39643a62
	v_pk_add_f16 v19, v19, v26
	s_mov_b32 s7, 0x39e9b8d2
	v_pk_mul_f16 v26, v57, s10
	v_pk_fma_f16 v28, v71, s13, v27 neg_lo:[0,0,1] neg_hi:[0,0,1]
	v_pk_fma_f16 v27, v67, s7, v26 neg_lo:[0,0,1] neg_hi:[0,0,1]
	s_mov_b32 s11, 0xba62b5c8
	v_pk_add_f16 v19, v19, v27
	s_mov_b32 s10, 0xb8d23b76
	v_pk_mul_f16 v27, v58, s11
	v_pk_fma_f16 v23, v63, s0, v23
	v_pk_add_f16 v17, v17, v28
	v_pk_fma_f16 v28, v68, s10, v27 neg_lo:[0,0,1] neg_hi:[0,0,1]
	s_mov_b32 s12, 0x3b29b1e1
	v_pk_add_f16 v23, v64, v23
	v_pk_fma_f16 v24, v65, s1, v24
	v_pk_add_f16 v19, v19, v28
	s_mov_b32 s11, 0x3722bbdd
	v_pk_mul_f16 v28, v59, s12
	v_pk_add_f16 v23, v23, v24
	v_pk_fma_f16 v24, v66, s6, v25
	v_pk_fma_f16 v29, v69, s11, v28 neg_lo:[0,0,1] neg_hi:[0,0,1]
	s_mov_b32 s13, 0xbbb23964
	v_pk_add_f16 v23, v23, v24
	v_pk_fma_f16 v24, v67, s7, v26
	v_pk_add_f16 v19, v19, v29
	s_mov_b32 s12, 0xb46139e9
	v_pk_mul_f16 v29, v60, s13
	v_pk_add_f16 v23, v23, v24
	v_pk_fma_f16 v24, v68, s10, v27
	;; [unrolled: 9-line block ×3, first 2 shown]
	v_pk_add_f16 v23, v23, v24
	v_pk_fma_f16 v24, v71, s13, v30
	v_pk_fma_f16 v31, v71, s13, v30 neg_lo:[0,0,1] neg_hi:[0,0,1]
	v_pk_add_f16 v23, v23, v24
	v_lshlrev_b32_e32 v24, 5, v0
	v_pk_add_f16 v19, v19, v31
	v_add3_u32 v24, v38, v24, v6
	ds_write_b16 v24, v20
	ds_write_b128 v24, v[16:19] offset:2
	v_alignbit_b32 v16, v23, v23, 16
	v_alignbit_b32 v17, v9, v9, 16
	;; [unrolled: 1-line block ×4, first 2 shown]
	ds_write_b128 v24, v[16:19] offset:18
.LBB0_15:
	s_or_b64 exec, exec, s[2:3]
	s_movk_i32 s0, 0xf1
	v_mul_lo_u16_sdwa v16, v0, s0 dst_sel:DWORD dst_unused:UNUSED_PAD src0_sel:BYTE_0 src1_sel:DWORD
	v_lshrrev_b16_e32 v43, 12, v16
	v_mul_lo_u16_e32 v16, 17, v43
	v_sub_u16_e32 v44, v0, v16
	v_mov_b32_e32 v16, 10
	v_mul_u32_u24_sdwa v16, v44, v16 dst_sel:DWORD dst_unused:UNUSED_PAD src0_sel:BYTE_0 src1_sel:DWORD
	v_lshlrev_b32_e32 v16, 2, v16
	s_load_dwordx2 s[2:3], s[4:5], 0x0
	s_waitcnt lgkmcnt(0)
	s_barrier
	global_load_dwordx4 v[17:20], v16, s[8:9]
	global_load_dwordx4 v[39:42], v16, s[8:9] offset:16
	global_load_dwordx2 v[21:22], v16, s[8:9] offset:32
	ds_read_u16 v16, v8
	ds_read_u16 v23, v7 offset:204
	ds_read_u16 v24, v7 offset:408
	;; [unrolled: 1-line block ×10, first 2 shown]
	s_movk_i32 s0, 0x36a6
	s_mov_b32 s1, 0xb93d
	s_mov_b32 s4, 0xbbad
	;; [unrolled: 1-line block ×7, first 2 shown]
	s_waitcnt vmcnt(0) lgkmcnt(0)
	s_barrier
	s_mov_b32 s6, 0xbb47
	s_mov_b32 s10, 0xba0c
	s_movk_i32 s7, 0x3482
	s_movk_i32 s19, 0x3beb
	;; [unrolled: 1-line block ×3, first 2 shown]
	v_mul_f16_sdwa v26, v23, v17 dst_sel:DWORD dst_unused:UNUSED_PAD src0_sel:DWORD src1_sel:WORD_1
	v_mul_f16_sdwa v28, v37, v17 dst_sel:DWORD dst_unused:UNUSED_PAD src0_sel:DWORD src1_sel:WORD_1
	;; [unrolled: 1-line block ×4, first 2 shown]
	v_fma_f16 v37, v37, v17, v26
	v_mul_f16_sdwa v32, v36, v18 dst_sel:DWORD dst_unused:UNUSED_PAD src0_sel:DWORD src1_sel:WORD_1
	v_mul_f16_sdwa v50, v25, v19 dst_sel:DWORD dst_unused:UNUSED_PAD src0_sel:DWORD src1_sel:WORD_1
	;; [unrolled: 1-line block ×3, first 2 shown]
	v_fma_f16 v31, v36, v18, v29
	v_fma_f16 v36, v10, v22, v64
	v_add_f16_e32 v10, v12, v37
	v_mul_f16_sdwa v52, v27, v20 dst_sel:DWORD dst_unused:UNUSED_PAD src0_sel:DWORD src1_sel:WORD_1
	v_fma_f16 v38, v23, v17, -v28
	v_fma_f16 v28, v35, v19, v50
	v_add_f16_e32 v10, v10, v31
	v_mul_f16_sdwa v54, v30, v39 dst_sel:DWORD dst_unused:UNUSED_PAD src0_sel:DWORD src1_sel:WORD_1
	v_fma_f16 v26, v34, v20, v52
	v_add_f16_e32 v10, v10, v28
	v_mul_f16_sdwa v55, v33, v39 dst_sel:DWORD dst_unused:UNUSED_PAD src0_sel:DWORD src1_sel:WORD_1
	v_mul_f16_sdwa v56, v45, v40 dst_sel:DWORD dst_unused:UNUSED_PAD src0_sel:DWORD src1_sel:WORD_1
	v_fma_f16 v23, v33, v39, v54
	v_add_f16_e32 v10, v10, v26
	v_mul_f16_sdwa v57, v15, v40 dst_sel:DWORD dst_unused:UNUSED_PAD src0_sel:DWORD src1_sel:WORD_1
	v_mul_f16_sdwa v58, v46, v41 dst_sel:DWORD dst_unused:UNUSED_PAD src0_sel:DWORD src1_sel:WORD_1
	;; [unrolled: 1-line block ×3, first 2 shown]
	v_fma_f16 v32, v24, v18, -v32
	v_fma_f16 v24, v30, v39, -v55
	v_fma_f16 v15, v15, v40, v56
	v_fma_f16 v39, v49, v22, -v65
	v_add_f16_e32 v10, v10, v23
	v_mul_f16_sdwa v51, v35, v19 dst_sel:DWORD dst_unused:UNUSED_PAD src0_sel:DWORD src1_sel:WORD_1
	v_mul_f16_sdwa v53, v34, v20 dst_sel:DWORD dst_unused:UNUSED_PAD src0_sel:DWORD src1_sel:WORD_1
	;; [unrolled: 1-line block ×6, first 2 shown]
	v_fma_f16 v14, v14, v41, v58
	v_fma_f16 v35, v48, v21, -v63
	v_sub_f16_e32 v18, v38, v39
	v_add_f16_e32 v10, v10, v15
	v_fma_f16 v29, v25, v19, -v51
	v_fma_f16 v27, v27, v20, -v53
	v_fma_f16 v13, v13, v42, v60
	v_fma_f16 v33, v47, v42, -v61
	v_fma_f16 v34, v11, v21, v62
	v_add_f16_e32 v17, v37, v36
	v_sub_f16_e32 v20, v32, v35
	v_mul_f16_e32 v11, 0xbb47, v18
	v_add_f16_e32 v10, v10, v14
	v_fma_f16 v25, v45, v40, -v57
	v_add_f16_e32 v19, v31, v34
	v_sub_f16_e32 v22, v29, v33
	v_mul_f16_e32 v40, 0xba0c, v20
	v_fma_f16 v42, v17, s0, v11
	v_fma_f16 v11, v17, s0, -v11
	v_add_f16_e32 v10, v10, v13
	v_fma_f16 v30, v46, v41, -v59
	v_add_f16_e32 v21, v28, v13
	v_mul_f16_e32 v41, 0x3482, v22
	v_fma_f16 v45, v19, s1, v40
	v_fma_f16 v40, v19, s1, -v40
	v_add_f16_e32 v42, v12, v42
	v_add_f16_e32 v11, v12, v11
	;; [unrolled: 1-line block ×6, first 2 shown]
	v_fma_f16 v10, v21, s4, v41
	v_fma_f16 v40, v21, s4, -v41
	v_sub_f16_e32 v41, v27, v30
	v_add_f16_e32 v10, v10, v42
	v_add_f16_e32 v11, v40, v11
	v_add_f16_e32 v40, v26, v14
	v_mul_f16_e32 v42, 0x3beb, v41
	s_mov_b32 s0, 0xb08e
	v_fma_f16 v46, v40, s0, v42
	v_add_f16_e32 v10, v46, v10
	v_fma_f16 v42, v40, s0, -v42
	v_sub_f16_e32 v46, v24, v25
	v_add_f16_e32 v11, v42, v11
	v_add_f16_e32 v42, v23, v15
	v_mul_f16_e32 v47, 0x3853, v46
	s_movk_i32 s0, 0x3abb
	v_fma_f16 v48, v42, s0, v47
	v_add_f16_e32 v48, v48, v10
	v_fma_f16 v10, v42, s0, -v47
	s_mov_b32 s0, 0xb853bbeb
	v_add_f16_e32 v10, v10, v11
	v_pk_mul_f16 v11, v18, s0 op_sel_hi:[0,1]
	s_mov_b32 s0, 0xbb473482
	v_pk_fma_f16 v47, v17, s11, v11 op_sel_hi:[0,1,1]
	v_pk_fma_f16 v11, v17, s11, v11 op_sel_hi:[0,1,1] neg_lo:[0,0,1] neg_hi:[0,0,1]
	v_pk_mul_f16 v50, v20, s0 op_sel_hi:[0,1]
	v_pk_add_f16 v11, v12, v11 op_sel_hi:[0,1]
	v_pk_fma_f16 v51, v19, s12, v50 op_sel_hi:[0,1,1]
	v_pk_fma_f16 v50, v19, s12, v50 op_sel_hi:[0,1,1] neg_lo:[0,0,1] neg_hi:[0,0,1]
	s_mov_b32 s0, 0xbbeb3b47
	v_add_f16_sdwa v49, v12, v47 dst_sel:DWORD dst_unused:UNUSED_PAD src0_sel:DWORD src1_sel:WORD_1
	v_add_f16_e32 v47, v12, v47
	v_pk_add_f16 v11, v50, v11
	v_pk_mul_f16 v50, v22, s0 op_sel_hi:[0,1]
	v_add_f16_sdwa v49, v51, v49 dst_sel:DWORD dst_unused:UNUSED_PAD src0_sel:WORD_1 src1_sel:DWORD
	v_add_f16_e32 v47, v51, v47
	v_pk_fma_f16 v51, v21, s16, v50 op_sel_hi:[0,1,1]
	v_pk_fma_f16 v50, v21, s16, v50 op_sel_hi:[0,1,1] neg_lo:[0,0,1] neg_hi:[0,0,1]
	s_mov_b32 s0, 0xba0cb853
	v_pk_add_f16 v11, v50, v11
	v_pk_mul_f16 v50, v41, s0 op_sel_hi:[0,1]
	v_add_f16_sdwa v49, v51, v49 dst_sel:DWORD dst_unused:UNUSED_PAD src0_sel:WORD_1 src1_sel:DWORD
	v_add_f16_e32 v47, v51, v47
	v_pk_fma_f16 v51, v40, s13, v50 op_sel_hi:[0,1,1]
	v_pk_fma_f16 v50, v40, s13, v50 op_sel_hi:[0,1,1] neg_lo:[0,0,1] neg_hi:[0,0,1]
	s_mov_b32 s0, 0xb482ba0c
	v_pk_add_f16 v11, v50, v11
	v_pk_mul_f16 v50, v46, s0 op_sel_hi:[0,1]
	s_mov_b32 s1, 0xba0cb482
	v_add_f16_sdwa v49, v51, v49 dst_sel:DWORD dst_unused:UNUSED_PAD src0_sel:WORD_1 src1_sel:DWORD
	v_add_f16_e32 v47, v51, v47
	v_pk_fma_f16 v51, v42, s17, v50 op_sel_hi:[0,1,1]
	v_pk_fma_f16 v50, v42, s17, v50 op_sel_hi:[0,1,1] neg_lo:[0,0,1] neg_hi:[0,0,1]
	s_mov_b32 s0, 0xb93dbbad
	v_pk_mul_f16 v18, v18, s1 op_sel_hi:[0,1]
	v_pk_add_f16 v11, v50, v11
	v_pk_fma_f16 v50, v17, s0, v18 op_sel_hi:[0,1,1]
	v_pk_fma_f16 v17, v17, s0, v18 op_sel_hi:[0,1,1] neg_lo:[0,0,1] neg_hi:[0,0,1]
	s_mov_b32 s1, 0x3beb3853
	v_add_f16_sdwa v49, v51, v49 dst_sel:DWORD dst_unused:UNUSED_PAD src0_sel:WORD_1 src1_sel:DWORD
	v_add_f16_e32 v47, v51, v47
	v_add_f16_sdwa v51, v12, v50 dst_sel:DWORD dst_unused:UNUSED_PAD src0_sel:DWORD src1_sel:WORD_1
	v_add_f16_e32 v50, v12, v50
	v_pk_add_f16 v12, v12, v17 op_sel_hi:[0,1]
	s_mov_b32 s0, 0xb08e3abb
	v_pk_mul_f16 v17, v20, s1 op_sel_hi:[0,1]
	v_pk_fma_f16 v18, v19, s0, v17 op_sel_hi:[0,1,1]
	v_pk_fma_f16 v17, v19, s0, v17 op_sel_hi:[0,1,1] neg_lo:[0,0,1] neg_hi:[0,0,1]
	s_mov_b32 s1, 0xb853ba0c
	v_pk_add_f16 v12, v17, v12
	s_mov_b32 s0, 0x3abbb93d
	v_pk_mul_f16 v17, v22, s1 op_sel_hi:[0,1]
	v_pk_fma_f16 v19, v21, s0, v17 op_sel_hi:[0,1,1]
	v_pk_fma_f16 v17, v21, s0, v17 op_sel_hi:[0,1,1] neg_lo:[0,0,1] neg_hi:[0,0,1]
	s_mov_b32 s1, 0xb4823b47
	v_add_f16_sdwa v20, v18, v51 dst_sel:DWORD dst_unused:UNUSED_PAD src0_sel:WORD_1 src1_sel:DWORD
	v_add_f16_e32 v18, v18, v50
	v_pk_add_f16 v12, v17, v12
	s_mov_b32 s0, 0xbbad36a6
	v_pk_mul_f16 v17, v41, s1 op_sel_hi:[0,1]
	v_add_f16_sdwa v20, v19, v20 dst_sel:DWORD dst_unused:UNUSED_PAD src0_sel:WORD_1 src1_sel:DWORD
	v_add_f16_e32 v18, v19, v18
	v_pk_fma_f16 v19, v40, s0, v17 op_sel_hi:[0,1,1]
	v_pk_fma_f16 v17, v40, s0, v17 op_sel_hi:[0,1,1] neg_lo:[0,0,1] neg_hi:[0,0,1]
	s_mov_b32 s1, 0x3b47bbeb
	v_pk_add_f16 v12, v17, v12
	s_mov_b32 s0, 0x36a6b08e
	v_pk_mul_f16 v17, v46, s1 op_sel_hi:[0,1]
	v_add_f16_sdwa v20, v19, v20 dst_sel:DWORD dst_unused:UNUSED_PAD src0_sel:WORD_1 src1_sel:DWORD
	v_add_f16_e32 v18, v19, v18
	v_pk_fma_f16 v19, v42, s0, v17 op_sel_hi:[0,1,1]
	v_add_f16_sdwa v20, v19, v20 dst_sel:DWORD dst_unused:UNUSED_PAD src0_sel:WORD_1 src1_sel:DWORD
	v_add_f16_e32 v18, v19, v18
	v_pk_fma_f16 v17, v42, s0, v17 op_sel_hi:[0,1,1] neg_lo:[0,0,1] neg_hi:[0,0,1]
	s_movk_i32 s0, 0x176
	v_mov_b32_e32 v19, 1
	v_pk_add_f16 v12, v17, v12
	v_mad_u32_u24 v17, v43, s0, 0
	v_lshlrev_b32_sdwa v19, v19, v44 dst_sel:DWORD dst_unused:UNUSED_PAD src0_sel:DWORD src1_sel:BYTE_0
	v_add3_u32 v40, v17, v19, v6
	ds_write_b16 v40, v45
	ds_write_b16 v40, v49 offset:34
	ds_write_b16 v40, v48 offset:68
	;; [unrolled: 1-line block ×6, first 2 shown]
	ds_write_b16_d16_hi v40, v12 offset:238
	ds_write_b16 v40, v11 offset:272
	ds_write_b16 v40, v10 offset:306
	ds_write_b16_d16_hi v40, v11 offset:340
	s_waitcnt lgkmcnt(0)
	s_barrier
	ds_read_u16 v17, v8
	ds_read_u16 v18, v7 offset:374
	ds_read_u16 v21, v7 offset:748
	;; [unrolled: 1-line block ×5, first 2 shown]
	s_movk_i32 s0, 0x55
	v_cmp_gt_u32_e64 s[0:1], s0, v0
	s_and_saveexec_b64 s[4:5], s[0:1]
	s_cbranch_execz .LBB0_17
; %bb.16:
	ds_read_u16 v6, v7 offset:204
	ds_read_u16 v11, v7 offset:578
	;; [unrolled: 1-line block ×6, first 2 shown]
	s_mov_b32 s22, 0x5040100
	s_waitcnt lgkmcnt(4)
	v_perm_b32 v12, v11, v6, s22
	s_waitcnt lgkmcnt(1)
	v_perm_b32 v11, v42, v41, s22
.LBB0_17:
	s_or_b64 exec, exec, s[4:5]
	v_add_f16_e32 v6, v16, v38
	v_add_f16_e32 v6, v6, v32
	;; [unrolled: 1-line block ×11, first 2 shown]
	v_sub_f16_e32 v36, v37, v36
	v_mul_f16_e32 v6, 0xb93d, v38
	s_movk_i32 s4, 0x3a0c
	v_add_f16_e32 v32, v32, v35
	v_fma_f16 v37, v36, s4, v6
	v_fma_f16 v6, v36, s10, v6
	v_sub_f16_e32 v31, v31, v34
	v_mul_f16_e32 v34, 0xb08e, v32
	s_mov_b32 s4, 0xbbeb
	v_add_f16_e32 v29, v29, v33
	v_add_f16_e32 v6, v16, v6
	v_fma_f16 v35, v31, s4, v34
	v_fma_f16 v34, v31, s19, v34
	v_sub_f16_e32 v28, v28, v13
	v_mul_f16_e32 v13, 0x3abb, v29
	s_mov_b32 s4, 0xb853
	v_add_f16_e32 v6, v34, v6
	v_fma_f16 v33, v28, s18, v13
	v_fma_f16 v13, v28, s4, v13
	v_add_f16_e32 v27, v27, v30
	v_add_f16_e32 v6, v13, v6
	v_sub_f16_e32 v14, v26, v14
	v_mul_f16_e32 v13, 0xbbad, v27
	s_mov_b32 s4, 0xb482
	v_add_f16_e32 v37, v16, v37
	v_fma_f16 v26, v14, s7, v13
	v_fma_f16 v13, v14, s4, v13
	v_add_f16_e32 v35, v35, v37
	v_add_f16_e32 v13, v13, v6
	v_pk_mul_f16 v6, v38, s16 op_sel_hi:[0,1]
	s_mov_b32 s4, 0xbbebbb47
	v_add_f16_e32 v33, v33, v35
	v_sub_f16_e32 v15, v23, v15
	v_pk_fma_f16 v23, v36, s4, v6 op_sel_hi:[0,1,1] neg_lo:[1,0,0] neg_hi:[1,0,0]
	v_pk_fma_f16 v6, v36, s4, v6 op_sel_hi:[0,1,1]
	v_pk_mul_f16 v30, v32, s17 op_sel_hi:[0,1]
	s_mov_b32 s4, 0x3482ba0c
	v_add_f16_e32 v26, v26, v33
	v_pk_add_f16 v6, v16, v6 op_sel_hi:[0,1]
	v_pk_fma_f16 v33, v31, s4, v30 op_sel_hi:[0,1,1] neg_lo:[1,0,0] neg_hi:[1,0,0]
	v_pk_fma_f16 v30, v31, s4, v30 op_sel_hi:[0,1,1]
	v_add_f16_e32 v24, v24, v25
	v_add_f16_e32 v25, v16, v23
	v_add_f16_sdwa v23, v16, v23 dst_sel:DWORD dst_unused:UNUSED_PAD src0_sel:DWORD src1_sel:WORD_1
	v_pk_add_f16 v6, v30, v6
	v_pk_mul_f16 v30, v29, s12 op_sel_hi:[0,1]
	s_mov_b32 s4, 0x3b473482
	v_add_f16_e32 v25, v33, v25
	v_add_f16_sdwa v23, v33, v23 dst_sel:DWORD dst_unused:UNUSED_PAD src0_sel:WORD_1 src1_sel:DWORD
	v_pk_fma_f16 v33, v28, s4, v30 op_sel_hi:[0,1,1] neg_lo:[1,0,0] neg_hi:[1,0,0]
	v_pk_fma_f16 v30, v28, s4, v30 op_sel_hi:[0,1,1]
	v_pk_add_f16 v6, v30, v6
	v_pk_mul_f16 v30, v27, s11 op_sel_hi:[0,1]
	s_mov_b32 s4, 0xb8533beb
	v_add_f16_e32 v25, v33, v25
	v_add_f16_sdwa v23, v33, v23 dst_sel:DWORD dst_unused:UNUSED_PAD src0_sel:WORD_1 src1_sel:DWORD
	v_pk_fma_f16 v33, v14, s4, v30 op_sel_hi:[0,1,1] neg_lo:[1,0,0] neg_hi:[1,0,0]
	v_pk_fma_f16 v30, v14, s4, v30 op_sel_hi:[0,1,1]
	;; [unrolled: 7-line block ×3, first 2 shown]
	v_pk_add_f16 v6, v30, v6
	v_mul_f16_e32 v30, 0x36a6, v24
	s_movk_i32 s4, 0x3b47
	v_add_f16_e32 v25, v33, v25
	v_add_f16_sdwa v23, v33, v23 dst_sel:DWORD dst_unused:UNUSED_PAD src0_sel:WORD_1 src1_sel:DWORD
	v_fma_f16 v33, v15, s6, v30
	v_fma_f16 v30, v15, s4, v30
	s_mov_b32 s4, 0x3abbbbad
	v_add_f16_e32 v13, v30, v13
	v_pk_mul_f16 v30, v38, s4 op_sel_hi:[0,1]
	s_mov_b32 s4, 0xb853b482
	v_add_f16_e32 v26, v33, v26
	v_pk_fma_f16 v33, v36, s4, v30 op_sel_hi:[0,1,1] neg_lo:[1,0,0] neg_hi:[1,0,0]
	v_pk_fma_f16 v30, v36, s4, v30 op_sel_hi:[0,1,1]
	s_mov_b32 s4, 0x36a63abb
	v_add_f16_sdwa v34, v16, v33 dst_sel:DWORD dst_unused:UNUSED_PAD src0_sel:DWORD src1_sel:WORD_1
	v_add_f16_e32 v33, v16, v33
	v_pk_add_f16 v16, v16, v30 op_sel_hi:[0,1]
	v_pk_mul_f16 v30, v32, s4 op_sel_hi:[0,1]
	s_mov_b32 s4, 0xbb473853
	v_pk_fma_f16 v32, v31, s4, v30 op_sel_hi:[0,1,1] neg_lo:[1,0,0] neg_hi:[1,0,0]
	v_pk_fma_f16 v30, v31, s4, v30 op_sel_hi:[0,1,1]
	s_mov_b32 s4, 0xb08eb93d
	v_pk_mul_f16 v29, v29, s4 op_sel_hi:[0,1]
	s_mov_b32 s4, 0xbbebba0c
	v_pk_add_f16 v16, v30, v16
	v_pk_fma_f16 v30, v28, s4, v29 op_sel_hi:[0,1,1] neg_lo:[1,0,0] neg_hi:[1,0,0]
	v_pk_fma_f16 v28, v28, s4, v29 op_sel_hi:[0,1,1]
	s_mov_b32 s4, 0xb93d36a6
	v_pk_mul_f16 v27, v27, s4 op_sel_hi:[0,1]
	s_mov_b32 s4, 0xba0c3b47
	v_add_f16_sdwa v34, v32, v34 dst_sel:DWORD dst_unused:UNUSED_PAD src0_sel:WORD_1 src1_sel:DWORD
	v_add_f16_e32 v32, v32, v33
	v_pk_add_f16 v16, v28, v16
	v_pk_fma_f16 v28, v14, s4, v27 op_sel_hi:[0,1,1] neg_lo:[1,0,0] neg_hi:[1,0,0]
	v_pk_fma_f16 v14, v14, s4, v27 op_sel_hi:[0,1,1]
	s_mov_b32 s4, 0xbbadb08e
	v_add_f16_sdwa v31, v30, v34 dst_sel:DWORD dst_unused:UNUSED_PAD src0_sel:WORD_1 src1_sel:DWORD
	v_add_f16_e32 v30, v30, v32
	v_pk_add_f16 v14, v14, v16
	v_pk_mul_f16 v16, v24, s4 op_sel_hi:[0,1]
	s_mov_b32 s4, 0xb482bbeb
	v_add_f16_sdwa v29, v28, v31 dst_sel:DWORD dst_unused:UNUSED_PAD src0_sel:WORD_1 src1_sel:DWORD
	v_add_f16_e32 v28, v28, v30
	v_pk_fma_f16 v24, v15, s4, v16 op_sel_hi:[0,1,1] neg_lo:[1,0,0] neg_hi:[1,0,0]
	v_pk_fma_f16 v15, v15, s4, v16 op_sel_hi:[0,1,1]
	v_add_f16_e32 v16, v24, v28
	v_pk_add_f16 v14, v15, v14
	v_add_f16_sdwa v27, v24, v29 dst_sel:DWORD dst_unused:UNUSED_PAD src0_sel:WORD_1 src1_sel:DWORD
	s_waitcnt lgkmcnt(0)
	s_barrier
	ds_write_b16 v40, v41
	ds_write_b16 v40, v27 offset:34
	ds_write_b16 v40, v25 offset:68
	;; [unrolled: 1-line block ×7, first 2 shown]
	v_lshrrev_b32_e32 v15, 16, v6
	v_lshrrev_b32_e32 v16, 16, v14
	ds_write_b16 v40, v15 offset:272
	ds_write_b16 v40, v6 offset:306
	;; [unrolled: 1-line block ×3, first 2 shown]
	s_waitcnt lgkmcnt(0)
	s_barrier
	ds_read_u16 v23, v8
	ds_read_u16 v24, v7 offset:374
	ds_read_u16 v27, v7 offset:748
	;; [unrolled: 1-line block ×5, first 2 shown]
	v_lshrrev_b32_e32 v8, 16, v9
	s_and_saveexec_b64 s[4:5], s[0:1]
	s_cbranch_execz .LBB0_19
; %bb.18:
	ds_read_u16 v14, v7 offset:204
	ds_read_u16 v13, v7 offset:578
	;; [unrolled: 1-line block ×6, first 2 shown]
.LBB0_19:
	s_or_b64 exec, exec, s[4:5]
	s_and_saveexec_b64 s[4:5], vcc
	s_cbranch_execz .LBB0_22
; %bb.20:
	v_mul_u32_u24_e32 v7, 5, v0
	v_lshlrev_b32_e32 v7, 2, v7
	global_load_dwordx4 v[29:32], v7, s[8:9] offset:680
	global_load_dword v9, v7, s[8:9] offset:696
	v_mad_u64_u32 v[33:34], s[4:5], s20, v0, 0
	v_mul_lo_u32 v36, s3, v3
	v_mul_lo_u32 v37, s2, v4
	v_mad_u64_u32 v[3:4], s[2:3], s2, v3, 0
	v_mov_b32_e32 v7, v34
	s_waitcnt lgkmcnt(0)
	v_mad_u64_u32 v[34:35], s[4:5], s21, v0, v[7:8]
	v_add3_u32 v4, v4, v37, v36
	s_mov_b32 s3, 0xbaee
	s_movk_i32 s2, 0x3aee
	v_lshlrev_b64 v[3:4], 2, v[3:4]
	v_mov_b32_e32 v7, s15
	v_lshlrev_b64 v[1:2], 2, v[1:2]
	s_waitcnt vmcnt(1)
	v_lshrrev_b32_e32 v36, 16, v31
	s_waitcnt vmcnt(0)
	v_lshrrev_b32_e32 v43, 16, v9
	v_lshrrev_b32_e32 v35, 16, v29
	v_mul_f16_sdwa v37, v21, v30 dst_sel:DWORD dst_unused:UNUSED_PAD src0_sel:DWORD src1_sel:WORD_1
	v_mul_f16_sdwa v38, v22, v32 dst_sel:DWORD dst_unused:UNUSED_PAD src0_sel:DWORD src1_sel:WORD_1
	v_mul_f16_sdwa v39, v27, v30 dst_sel:DWORD dst_unused:UNUSED_PAD src0_sel:DWORD src1_sel:WORD_1
	v_mul_f16_sdwa v40, v28, v32 dst_sel:DWORD dst_unused:UNUSED_PAD src0_sel:DWORD src1_sel:WORD_1
	v_mul_f16_e32 v41, v18, v29
	v_mul_f16_e32 v42, v19, v31
	v_mul_f16_e32 v44, v20, v9
	v_mul_f16_e32 v19, v19, v36
	v_mul_f16_e32 v20, v20, v43
	v_fma_f16 v27, v27, v30, -v37
	v_fma_f16 v28, v28, v32, -v38
	v_fma_f16 v21, v21, v30, v39
	v_fma_f16 v22, v22, v32, v40
	;; [unrolled: 1-line block ×5, first 2 shown]
	v_mul_f16_e32 v18, v18, v35
	v_fma_f16 v19, v25, v31, -v19
	v_fma_f16 v9, v26, v9, -v20
	v_add_f16_e32 v35, v27, v28
	v_sub_f16_e32 v36, v21, v22
	v_add_f16_e32 v38, v32, v37
	v_fma_f16 v18, v24, v29, -v18
	v_add_f16_e32 v24, v23, v27
	v_add_f16_e32 v25, v21, v22
	v_sub_f16_e32 v26, v27, v28
	v_add_f16_e32 v21, v17, v21
	v_add_f16_e32 v27, v30, v32
	;; [unrolled: 1-line block ×3, first 2 shown]
	v_sub_f16_e32 v20, v32, v37
	v_fma_f16 v29, v38, -0.5, v30
	v_sub_f16_e32 v30, v19, v9
	v_add_f16_e32 v19, v18, v19
	v_fma_f16 v17, v25, -0.5, v17
	v_add_f16_e32 v21, v21, v22
	v_add_f16_e32 v22, v27, v37
	v_fma_f16 v18, v31, -0.5, v18
	v_add_f16_e32 v24, v24, v28
	v_add_f16_e32 v9, v19, v9
	v_fma_f16 v19, v26, s2, v17
	v_fma_f16 v17, v26, s3, v17
	v_sub_f16_e32 v26, v21, v22
	v_add_f16_e32 v21, v21, v22
	v_fma_f16 v22, v20, s3, v18
	v_fma_f16 v18, v20, s2, v18
	v_fma_f16 v23, v35, -0.5, v23
	v_fma_f16 v27, v30, s2, v29
	v_fma_f16 v28, v30, s3, v29
	v_sub_f16_e32 v29, v24, v9
	v_add_f16_e32 v9, v24, v9
	v_mul_f16_e32 v20, -0.5, v22
	v_mul_f16_e32 v24, 0.5, v18
	v_mul_f16_e32 v22, 0xbaee, v22
	v_mul_f16_e32 v18, 0xbaee, v18
	v_fma_f16 v25, v36, s3, v23
	v_fma_f16 v23, v36, s2, v23
	;; [unrolled: 1-line block ×3, first 2 shown]
	v_fma_f16 v22, v27, -0.5, v22
	v_fma_f16 v18, v28, 0.5, v18
	v_sub_f16_e32 v28, v23, v24
	v_sub_f16_e32 v30, v19, v22
	;; [unrolled: 1-line block ×3, first 2 shown]
	v_add_f16_e32 v23, v23, v24
	v_add_f16_e32 v22, v19, v22
	;; [unrolled: 1-line block ×3, first 2 shown]
	v_add_co_u32_e32 v17, vcc, s14, v3
	v_add_u32_e32 v19, 0xbb, v0
	v_addc_co_u32_e32 v7, vcc, v7, v4, vcc
	v_mad_u64_u32 v[3:4], s[4:5], s20, v19, 0
	v_add_co_u32_e32 v1, vcc, v17, v1
	v_lshlrev_b64 v[17:18], 2, v[33:34]
	v_addc_co_u32_e32 v2, vcc, v7, v2, vcc
	v_fma_f16 v20, v27, s2, v20
	v_add_co_u32_e32 v17, vcc, v1, v17
	v_sub_f16_e32 v27, v25, v20
	v_add_f16_e32 v25, v25, v20
	v_mad_u64_u32 v[19:20], s[4:5], s21, v19, v[4:5]
	v_addc_co_u32_e32 v18, vcc, v2, v18, vcc
	v_pack_b32_f16 v4, v21, v9
	v_add_u32_e32 v9, 0x176, v0
	global_store_dword v[17:18], v4, off
	v_mad_u64_u32 v[17:18], s[4:5], s20, v9, 0
	v_mov_b32_e32 v4, v19
	v_lshlrev_b64 v[3:4], 2, v[3:4]
	v_mov_b32_e32 v7, v18
	v_mad_u64_u32 v[18:19], s[4:5], s21, v9, v[7:8]
	v_add_u32_e32 v9, 0x231, v0
	v_mad_u64_u32 v[19:20], s[4:5], s20, v9, 0
	v_add_co_u32_e32 v3, vcc, v1, v3
	v_addc_co_u32_e32 v4, vcc, v2, v4, vcc
	v_pack_b32_f16 v21, v24, v23
	v_mov_b32_e32 v7, v20
	global_store_dword v[3:4], v21, off
	v_lshlrev_b64 v[3:4], 2, v[17:18]
	v_mad_u64_u32 v[17:18], s[4:5], s21, v9, v[7:8]
	v_add_u32_e32 v9, 0x2ec, v0
	v_add_co_u32_e32 v3, vcc, v1, v3
	v_mov_b32_e32 v20, v17
	v_mad_u64_u32 v[17:18], s[4:5], s20, v9, 0
	v_addc_co_u32_e32 v4, vcc, v2, v4, vcc
	v_pack_b32_f16 v7, v22, v25
	global_store_dword v[3:4], v7, off
	v_mov_b32_e32 v7, v18
	v_lshlrev_b64 v[3:4], 2, v[19:20]
	v_mad_u64_u32 v[18:19], s[4:5], s21, v9, v[7:8]
	v_add_u32_e32 v9, 0x3a7, v0
	v_mad_u64_u32 v[19:20], s[4:5], s20, v9, 0
	v_add_co_u32_e32 v3, vcc, v1, v3
	v_addc_co_u32_e32 v4, vcc, v2, v4, vcc
	v_pack_b32_f16 v21, v26, v29
	v_mov_b32_e32 v7, v20
	global_store_dword v[3:4], v21, off
	v_lshlrev_b64 v[3:4], 2, v[17:18]
	v_mad_u64_u32 v[17:18], s[4:5], s21, v9, v[7:8]
	v_add_co_u32_e32 v3, vcc, v1, v3
	v_addc_co_u32_e32 v4, vcc, v2, v4, vcc
	v_pack_b32_f16 v7, v31, v28
	v_mov_b32_e32 v20, v17
	global_store_dword v[3:4], v7, off
	v_lshlrev_b64 v[3:4], 2, v[19:20]
	v_pack_b32_f16 v7, v30, v27
	v_add_co_u32_e32 v3, vcc, v1, v3
	v_addc_co_u32_e32 v4, vcc, v2, v4, vcc
	global_store_dword v[3:4], v7, off
	s_and_b64 exec, exec, s[0:1]
	s_cbranch_execz .LBB0_22
; %bb.21:
	v_add_u32_e32 v7, 0x66, v0
	v_add_u32_e32 v3, 0xffffffab, v0
	v_cndmask_b32_e64 v3, v3, v7, s[0:1]
	v_mul_i32_i24_e32 v3, 5, v3
	v_mov_b32_e32 v4, 0
	v_lshlrev_b64 v[3:4], 2, v[3:4]
	v_mov_b32_e32 v9, s9
	v_add_co_u32_e32 v3, vcc, s8, v3
	v_addc_co_u32_e32 v4, vcc, v9, v4, vcc
	global_load_dwordx4 v[17:20], v[3:4], off offset:680
	global_load_dword v9, v[3:4], off offset:696
	v_mad_u64_u32 v[3:4], s[0:1], s20, v7, 0
	v_add_u32_e32 v25, 0x121, v0
	v_mad_u64_u32 v[21:22], s[0:1], s20, v25, 0
	v_mad_u64_u32 v[23:24], s[0:1], s21, v7, v[4:5]
	v_lshrrev_b32_e32 v24, 16, v12
	v_lshrrev_b32_e32 v26, 16, v11
	v_mov_b32_e32 v4, v23
	v_mov_b32_e32 v7, v22
	v_lshlrev_b64 v[3:4], 2, v[3:4]
	v_add_co_u32_e32 v3, vcc, v1, v3
	v_addc_co_u32_e32 v4, vcc, v2, v4, vcc
	s_waitcnt vmcnt(1)
	v_mul_f16_sdwa v23, v24, v17 dst_sel:DWORD dst_unused:UNUSED_PAD src0_sel:DWORD src1_sel:WORD_1
	v_mul_f16_sdwa v30, v10, v19 dst_sel:DWORD dst_unused:UNUSED_PAD src0_sel:DWORD src1_sel:WORD_1
	s_waitcnt vmcnt(0)
	v_mul_f16_sdwa v34, v5, v9 dst_sel:DWORD dst_unused:UNUSED_PAD src0_sel:DWORD src1_sel:WORD_1
	v_mul_f16_sdwa v22, v13, v17 dst_sel:DWORD dst_unused:UNUSED_PAD src0_sel:DWORD src1_sel:WORD_1
	;; [unrolled: 1-line block ×8, first 2 shown]
	v_fma_f16 v13, v13, v17, -v23
	v_fma_f16 v6, v6, v19, -v30
	;; [unrolled: 1-line block ×3, first 2 shown]
	v_fma_f16 v22, v24, v17, v22
	v_fma_f16 v11, v11, v18, v27
	v_fma_f16 v15, v15, v18, -v28
	v_fma_f16 v10, v10, v19, v29
	v_fma_f16 v17, v26, v20, v31
	v_fma_f16 v16, v16, v20, -v32
	v_fma_f16 v5, v5, v9, v33
	v_sub_f16_e32 v26, v6, v8
	v_add_f16_e32 v27, v13, v6
	v_add_f16_e32 v6, v6, v8
	;; [unrolled: 1-line block ×4, first 2 shown]
	v_sub_f16_e32 v19, v15, v16
	v_add_f16_e32 v20, v14, v15
	v_add_f16_e32 v15, v15, v16
	;; [unrolled: 1-line block ×4, first 2 shown]
	v_sub_f16_e32 v10, v10, v5
	v_fma_f16 v6, v6, -0.5, v13
	v_sub_f16_e32 v11, v11, v17
	v_add_f16_e32 v9, v9, v17
	v_fma_f16 v12, v18, -0.5, v12
	v_add_f16_e32 v16, v20, v16
	v_fma_f16 v14, v15, -0.5, v14
	;; [unrolled: 2-line block ×3, first 2 shown]
	v_add_f16_e32 v8, v27, v8
	v_fma_f16 v18, v10, s2, v6
	v_fma_f16 v6, v10, s3, v6
	;; [unrolled: 1-line block ×8, first 2 shown]
	v_add_f16_e32 v10, v9, v5
	v_add_f16_e32 v19, v16, v8
	v_sub_f16_e32 v9, v9, v5
	v_sub_f16_e32 v16, v16, v8
	v_mul_f16_e32 v5, 0xbaee, v18
	v_mul_f16_e32 v8, 0xbaee, v6
	v_mul_f16_e32 v6, -0.5, v6
	v_fma_f16 v5, v14, 0.5, v5
	v_fma_f16 v8, v15, -0.5, v8
	v_fma_f16 v6, v15, s2, v6
	v_add_f16_e32 v15, v13, v5
	v_add_f16_e32 v23, v11, v6
	v_sub_f16_e32 v13, v13, v5
	v_sub_f16_e32 v11, v11, v6
	v_mad_u64_u32 v[5:6], s[0:1], s21, v25, v[7:8]
	v_pack_b32_f16 v6, v10, v19
	v_add_u32_e32 v7, 0x1dc, v0
	global_store_dword v[3:4], v6, off
	v_mov_b32_e32 v22, v5
	v_mad_u64_u32 v[5:6], s[0:1], s20, v7, 0
	v_mul_f16_e32 v18, 0.5, v18
	v_fma_f16 v14, v14, s2, v18
	v_add_f16_e32 v20, v17, v14
	v_pack_b32_f16 v10, v15, v20
	v_mad_u64_u32 v[6:7], s[0:1], s21, v7, v[6:7]
	v_add_u32_e32 v15, 0x297, v0
	v_add_f16_e32 v18, v12, v8
	v_sub_f16_e32 v12, v12, v8
	v_lshlrev_b64 v[3:4], 2, v[21:22]
	v_mad_u64_u32 v[7:8], s[0:1], s20, v15, 0
	v_add_co_u32_e32 v3, vcc, v1, v3
	v_addc_co_u32_e32 v4, vcc, v2, v4, vcc
	global_store_dword v[3:4], v10, off
	v_lshlrev_b64 v[3:4], 2, v[5:6]
	v_mov_b32_e32 v5, v8
	v_mad_u64_u32 v[5:6], s[0:1], s21, v15, v[5:6]
	v_add_co_u32_e32 v3, vcc, v1, v3
	v_addc_co_u32_e32 v4, vcc, v2, v4, vcc
	v_pack_b32_f16 v6, v18, v23
	v_mov_b32_e32 v8, v5
	global_store_dword v[3:4], v6, off
	v_lshlrev_b64 v[3:4], 2, v[7:8]
	v_add_u32_e32 v7, 0x352, v0
	v_mad_u64_u32 v[5:6], s[0:1], s20, v7, 0
	v_add_u32_e32 v10, 0x40d, v0
	v_add_co_u32_e32 v3, vcc, v1, v3
	v_mad_u64_u32 v[6:7], s[0:1], s21, v7, v[6:7]
	v_mad_u64_u32 v[7:8], s[0:1], s20, v10, 0
	v_addc_co_u32_e32 v4, vcc, v2, v4, vcc
	v_pack_b32_f16 v9, v9, v16
	v_mov_b32_e32 v0, v8
	global_store_dword v[3:4], v9, off
	v_lshlrev_b64 v[3:4], 2, v[5:6]
	v_mad_u64_u32 v[5:6], s[0:1], s21, v10, v[0:1]
	v_sub_f16_e32 v14, v17, v14
	v_add_co_u32_e32 v3, vcc, v1, v3
	v_addc_co_u32_e32 v4, vcc, v2, v4, vcc
	v_pack_b32_f16 v0, v13, v14
	v_mov_b32_e32 v8, v5
	global_store_dword v[3:4], v0, off
	v_lshlrev_b64 v[3:4], 2, v[7:8]
	v_add_co_u32_e32 v0, vcc, v1, v3
	v_addc_co_u32_e32 v1, vcc, v2, v4, vcc
	v_pack_b32_f16 v2, v12, v11
	global_store_dword v[0:1], v2, off
.LBB0_22:
	s_endpgm
	.section	.rodata,"a",@progbits
	.p2align	6, 0x0
	.amdhsa_kernel fft_rtc_back_len1122_factors_17_11_6_wgs_204_tpt_102_halfLds_half_op_CI_CI_sbrr_dirReg
		.amdhsa_group_segment_fixed_size 0
		.amdhsa_private_segment_fixed_size 0
		.amdhsa_kernarg_size 104
		.amdhsa_user_sgpr_count 6
		.amdhsa_user_sgpr_private_segment_buffer 1
		.amdhsa_user_sgpr_dispatch_ptr 0
		.amdhsa_user_sgpr_queue_ptr 0
		.amdhsa_user_sgpr_kernarg_segment_ptr 1
		.amdhsa_user_sgpr_dispatch_id 0
		.amdhsa_user_sgpr_flat_scratch_init 0
		.amdhsa_user_sgpr_private_segment_size 0
		.amdhsa_uses_dynamic_stack 0
		.amdhsa_system_sgpr_private_segment_wavefront_offset 0
		.amdhsa_system_sgpr_workgroup_id_x 1
		.amdhsa_system_sgpr_workgroup_id_y 0
		.amdhsa_system_sgpr_workgroup_id_z 0
		.amdhsa_system_sgpr_workgroup_info 0
		.amdhsa_system_vgpr_workitem_id 0
		.amdhsa_next_free_vgpr 102
		.amdhsa_next_free_sgpr 35
		.amdhsa_reserve_vcc 1
		.amdhsa_reserve_flat_scratch 0
		.amdhsa_float_round_mode_32 0
		.amdhsa_float_round_mode_16_64 0
		.amdhsa_float_denorm_mode_32 3
		.amdhsa_float_denorm_mode_16_64 3
		.amdhsa_dx10_clamp 1
		.amdhsa_ieee_mode 1
		.amdhsa_fp16_overflow 0
		.amdhsa_exception_fp_ieee_invalid_op 0
		.amdhsa_exception_fp_denorm_src 0
		.amdhsa_exception_fp_ieee_div_zero 0
		.amdhsa_exception_fp_ieee_overflow 0
		.amdhsa_exception_fp_ieee_underflow 0
		.amdhsa_exception_fp_ieee_inexact 0
		.amdhsa_exception_int_div_zero 0
	.end_amdhsa_kernel
	.text
.Lfunc_end0:
	.size	fft_rtc_back_len1122_factors_17_11_6_wgs_204_tpt_102_halfLds_half_op_CI_CI_sbrr_dirReg, .Lfunc_end0-fft_rtc_back_len1122_factors_17_11_6_wgs_204_tpt_102_halfLds_half_op_CI_CI_sbrr_dirReg
                                        ; -- End function
	.section	.AMDGPU.csdata,"",@progbits
; Kernel info:
; codeLenInByte = 12092
; NumSgprs: 39
; NumVgprs: 102
; ScratchSize: 0
; MemoryBound: 0
; FloatMode: 240
; IeeeMode: 1
; LDSByteSize: 0 bytes/workgroup (compile time only)
; SGPRBlocks: 4
; VGPRBlocks: 25
; NumSGPRsForWavesPerEU: 39
; NumVGPRsForWavesPerEU: 102
; Occupancy: 2
; WaveLimiterHint : 1
; COMPUTE_PGM_RSRC2:SCRATCH_EN: 0
; COMPUTE_PGM_RSRC2:USER_SGPR: 6
; COMPUTE_PGM_RSRC2:TRAP_HANDLER: 0
; COMPUTE_PGM_RSRC2:TGID_X_EN: 1
; COMPUTE_PGM_RSRC2:TGID_Y_EN: 0
; COMPUTE_PGM_RSRC2:TGID_Z_EN: 0
; COMPUTE_PGM_RSRC2:TIDIG_COMP_CNT: 0
	.type	__hip_cuid_116fb38f378856f3,@object ; @__hip_cuid_116fb38f378856f3
	.section	.bss,"aw",@nobits
	.globl	__hip_cuid_116fb38f378856f3
__hip_cuid_116fb38f378856f3:
	.byte	0                               ; 0x0
	.size	__hip_cuid_116fb38f378856f3, 1

	.ident	"AMD clang version 19.0.0git (https://github.com/RadeonOpenCompute/llvm-project roc-6.4.0 25133 c7fe45cf4b819c5991fe208aaa96edf142730f1d)"
	.section	".note.GNU-stack","",@progbits
	.addrsig
	.addrsig_sym __hip_cuid_116fb38f378856f3
	.amdgpu_metadata
---
amdhsa.kernels:
  - .args:
      - .actual_access:  read_only
        .address_space:  global
        .offset:         0
        .size:           8
        .value_kind:     global_buffer
      - .offset:         8
        .size:           8
        .value_kind:     by_value
      - .actual_access:  read_only
        .address_space:  global
        .offset:         16
        .size:           8
        .value_kind:     global_buffer
      - .actual_access:  read_only
        .address_space:  global
        .offset:         24
        .size:           8
        .value_kind:     global_buffer
      - .actual_access:  read_only
        .address_space:  global
        .offset:         32
        .size:           8
        .value_kind:     global_buffer
      - .offset:         40
        .size:           8
        .value_kind:     by_value
      - .actual_access:  read_only
        .address_space:  global
        .offset:         48
        .size:           8
        .value_kind:     global_buffer
      - .actual_access:  read_only
        .address_space:  global
        .offset:         56
        .size:           8
        .value_kind:     global_buffer
      - .offset:         64
        .size:           4
        .value_kind:     by_value
      - .actual_access:  read_only
        .address_space:  global
        .offset:         72
        .size:           8
        .value_kind:     global_buffer
      - .actual_access:  read_only
        .address_space:  global
        .offset:         80
        .size:           8
        .value_kind:     global_buffer
      - .actual_access:  read_only
        .address_space:  global
        .offset:         88
        .size:           8
        .value_kind:     global_buffer
      - .actual_access:  write_only
        .address_space:  global
        .offset:         96
        .size:           8
        .value_kind:     global_buffer
    .group_segment_fixed_size: 0
    .kernarg_segment_align: 8
    .kernarg_segment_size: 104
    .language:       OpenCL C
    .language_version:
      - 2
      - 0
    .max_flat_workgroup_size: 204
    .name:           fft_rtc_back_len1122_factors_17_11_6_wgs_204_tpt_102_halfLds_half_op_CI_CI_sbrr_dirReg
    .private_segment_fixed_size: 0
    .sgpr_count:     39
    .sgpr_spill_count: 0
    .symbol:         fft_rtc_back_len1122_factors_17_11_6_wgs_204_tpt_102_halfLds_half_op_CI_CI_sbrr_dirReg.kd
    .uniform_work_group_size: 1
    .uses_dynamic_stack: false
    .vgpr_count:     102
    .vgpr_spill_count: 0
    .wavefront_size: 64
amdhsa.target:   amdgcn-amd-amdhsa--gfx906
amdhsa.version:
  - 1
  - 2
...

	.end_amdgpu_metadata
